;; amdgpu-corpus repo=ROCm/rocFFT kind=compiled arch=gfx1201 opt=O3
	.text
	.amdgcn_target "amdgcn-amd-amdhsa--gfx1201"
	.amdhsa_code_object_version 6
	.protected	bluestein_single_fwd_len1200_dim1_dp_op_CI_CI ; -- Begin function bluestein_single_fwd_len1200_dim1_dp_op_CI_CI
	.globl	bluestein_single_fwd_len1200_dim1_dp_op_CI_CI
	.p2align	8
	.type	bluestein_single_fwd_len1200_dim1_dp_op_CI_CI,@function
bluestein_single_fwd_len1200_dim1_dp_op_CI_CI: ; @bluestein_single_fwd_len1200_dim1_dp_op_CI_CI
; %bb.0:
	s_load_b128 s[12:15], s[0:1], 0x28
	v_mul_u32_u24_e32 v1, 0x36a, v0
	s_mov_b32 s2, exec_lo
	s_delay_alu instid0(VALU_DEP_1) | instskip(NEXT) | instid1(VALU_DEP_1)
	v_lshrrev_b32_e32 v1, 16, v1
	v_mad_co_u64_u32 v[125:126], null, ttmp9, 3, v[1:2]
	v_mov_b32_e32 v126, 0
	s_wait_kmcnt 0x0
	s_delay_alu instid0(VALU_DEP_1)
	v_cmpx_gt_u64_e64 s[12:13], v[125:126]
	s_cbranch_execz .LBB0_31
; %bb.1:
	s_clause 0x1
	s_load_b128 s[4:7], s[0:1], 0x18
	s_load_b64 s[12:13], s[0:1], 0x0
	v_mul_lo_u16 v1, 0x4b, v1
	s_movk_i32 s2, 0xfc8b
	s_mov_b32 s3, -1
	v_mul_hi_u32 v79, 0xaaaaaaab, v125
	s_delay_alu instid0(VALU_DEP_2) | instskip(NEXT) | instid1(VALU_DEP_1)
	v_sub_nc_u16 v2, v0, v1
	v_and_b32_e32 v7, 0xffff, v2
	s_delay_alu instid0(VALU_DEP_3)
	v_lshrrev_b32_e32 v79, 1, v79
	scratch_store_b32 off, v7, off          ; 4-byte Folded Spill
	v_lshl_add_u32 v79, v79, 1, v79
	s_wait_kmcnt 0x0
	s_load_b128 s[8:11], s[4:5], 0x0
	s_wait_kmcnt 0x0
	v_mad_co_u64_u32 v[0:1], null, s10, v125, 0
	v_mad_co_u64_u32 v[3:4], null, s8, v7, 0
	s_mul_u64 s[4:5], s[8:9], 0xf0
	s_mul_u64 s[2:3], s[8:9], s[2:3]
	s_delay_alu instid0(SALU_CYCLE_1) | instskip(NEXT) | instid1(VALU_DEP_2)
	s_lshl_b64 s[2:3], s[2:3], 4
	v_mad_co_u64_u32 v[5:6], null, s11, v125, v[1:2]
	v_lshlrev_b32_e32 v80, 4, v7
	s_lshl_b64 s[10:11], s[4:5], 4
	s_delay_alu instid0(VALU_DEP_2)
	v_mov_b32_e32 v1, v5
	v_mad_co_u64_u32 v[6:7], null, s9, v7, v[4:5]
	s_clause 0x6
	global_load_b128 v[130:133], v80, s[12:13]
	global_load_b128 v[126:129], v80, s[12:13] offset:1200
	global_load_b128 v[138:141], v80, s[12:13] offset:7680
	;; [unrolled: 1-line block ×6, first 2 shown]
	v_lshlrev_b64_e32 v[0:1], 4, v[0:1]
	s_clause 0x5
	global_load_b128 v[166:169], v80, s[12:13] offset:3840
	global_load_b128 v[154:157], v80, s[12:13] offset:2400
	;; [unrolled: 1-line block ×6, first 2 shown]
	v_mov_b32_e32 v4, v6
	v_add_co_u32 v0, vcc_lo, s14, v0
	v_add_co_ci_u32_e32 v1, vcc_lo, s15, v1, vcc_lo
	s_delay_alu instid0(VALU_DEP_3) | instskip(NEXT) | instid1(VALU_DEP_1)
	v_lshlrev_b64_e32 v[3:4], 4, v[3:4]
	v_add_co_u32 v0, vcc_lo, v0, v3
	s_wait_alu 0xfffd
	s_delay_alu instid0(VALU_DEP_2) | instskip(SKIP_1) | instid1(VALU_DEP_2)
	v_add_co_ci_u32_e32 v1, vcc_lo, v1, v4, vcc_lo
	s_wait_alu 0xfffe
	v_add_co_u32 v7, vcc_lo, v0, s10
	s_wait_alu 0xfffd
	s_delay_alu instid0(VALU_DEP_2) | instskip(NEXT) | instid1(VALU_DEP_2)
	v_add_co_ci_u32_e32 v8, vcc_lo, s11, v1, vcc_lo
	v_add_co_u32 v11, vcc_lo, v7, s10
	s_wait_alu 0xfffd
	s_delay_alu instid0(VALU_DEP_2)
	v_add_co_ci_u32_e32 v12, vcc_lo, s11, v8, vcc_lo
	s_clause 0x1
	global_load_b128 v[3:6], v[0:1], off
	global_load_b128 v[7:10], v[7:8], off
	v_add_co_u32 v15, vcc_lo, v11, s10
	s_wait_alu 0xfffd
	v_add_co_ci_u32_e32 v16, vcc_lo, s11, v12, vcc_lo
	s_delay_alu instid0(VALU_DEP_2) | instskip(SKIP_1) | instid1(VALU_DEP_2)
	v_add_co_u32 v19, vcc_lo, v15, s10
	s_wait_alu 0xfffd
	v_add_co_ci_u32_e32 v20, vcc_lo, s11, v16, vcc_lo
	s_clause 0x1
	global_load_b128 v[11:14], v[11:12], off
	global_load_b128 v[15:18], v[15:16], off
	v_add_co_u32 v0, vcc_lo, v19, s2
	s_wait_alu 0xfffd
	v_add_co_ci_u32_e32 v1, vcc_lo, s3, v20, vcc_lo
	global_load_b128 v[19:22], v[19:20], off
	v_add_co_u32 v27, vcc_lo, v0, s10
	s_wait_alu 0xfffd
	v_add_co_ci_u32_e32 v28, vcc_lo, s11, v1, vcc_lo
	global_load_b128 v[23:26], v[0:1], off
	v_add_co_u32 v31, vcc_lo, v27, s10
	s_wait_alu 0xfffd
	v_add_co_ci_u32_e32 v32, vcc_lo, s11, v28, vcc_lo
	global_load_b128 v[27:30], v[27:28], off
	v_add_co_u32 v0, vcc_lo, v31, s10
	s_wait_alu 0xfffd
	v_add_co_ci_u32_e32 v1, vcc_lo, s11, v32, vcc_lo
	global_load_b128 v[31:34], v[31:32], off
	v_add_co_u32 v39, vcc_lo, v0, s10
	s_wait_alu 0xfffd
	v_add_co_ci_u32_e32 v40, vcc_lo, s11, v1, vcc_lo
	global_load_b128 v[35:38], v[0:1], off
	v_add_co_u32 v43, vcc_lo, v39, s2
	s_wait_alu 0xfffd
	v_add_co_ci_u32_e32 v44, vcc_lo, s3, v40, vcc_lo
	global_load_b128 v[39:42], v[39:40], off
	v_add_co_u32 v0, vcc_lo, v43, s10
	s_wait_alu 0xfffd
	v_add_co_ci_u32_e32 v1, vcc_lo, s11, v44, vcc_lo
	global_load_b128 v[43:46], v[43:44], off
	v_add_co_u32 v51, vcc_lo, v0, s10
	s_wait_alu 0xfffd
	v_add_co_ci_u32_e32 v52, vcc_lo, s11, v1, vcc_lo
	global_load_b128 v[47:50], v[0:1], off
	v_add_co_u32 v55, vcc_lo, v51, s10
	s_wait_alu 0xfffd
	v_add_co_ci_u32_e32 v56, vcc_lo, s11, v52, vcc_lo
	s_delay_alu instid0(VALU_DEP_2) | instskip(SKIP_1) | instid1(VALU_DEP_2)
	v_add_co_u32 v0, vcc_lo, v55, s10
	s_wait_alu 0xfffd
	v_add_co_ci_u32_e32 v1, vcc_lo, s11, v56, vcc_lo
	global_load_b128 v[51:54], v[51:52], off
	global_load_b128 v[178:181], v80, s[12:13] offset:13920
	global_load_b128 v[55:58], v[55:56], off
	global_load_b128 v[182:185], v80, s[12:13] offset:17760
	global_load_b128 v[59:62], v[0:1], off
	v_cmp_gt_u16_e32 vcc_lo, 15, v2
	s_wait_loadcnt 0x1d
	scratch_store_b128 off, v[130:133], off offset:40 ; 16-byte Folded Spill
	s_wait_loadcnt 0x1b
	scratch_store_b128 off, v[138:141], off offset:72 ; 16-byte Folded Spill
	;; [unrolled: 2-line block ×3, first 2 shown]
	s_wait_loadcnt 0x16
	s_clause 0x2
	scratch_store_b128 off, v[166:169], off offset:184
	scratch_store_b128 off, v[146:149], off offset:104
	;; [unrolled: 1-line block ×3, first 2 shown]
	s_wait_loadcnt 0x12
	scratch_store_b128 off, v[174:177], off offset:216 ; 16-byte Folded Spill
	s_wait_loadcnt 0x11
	s_clause 0x4
	scratch_store_b128 off, v[170:173], off offset:200
	scratch_store_b128 off, v[158:161], off offset:152
	;; [unrolled: 1-line block ×5, first 2 shown]
	s_wait_loadcnt 0x10
	v_mul_f64_e32 v[63:64], v[5:6], v[132:133]
	v_mul_f64_e32 v[65:66], v[3:4], v[132:133]
	s_wait_loadcnt 0xf
	v_mul_f64_e32 v[67:68], v[9:10], v[168:169]
	v_mul_f64_e32 v[69:70], v[7:8], v[168:169]
	s_wait_loadcnt 0xe
	v_mul_f64_e32 v[71:72], v[13:14], v[140:141]
	s_wait_loadcnt 0xd
	v_mul_f64_e32 v[75:76], v[17:18], v[176:177]
	v_mul_f64_e32 v[77:78], v[15:16], v[176:177]
	v_mul_f64_e32 v[73:74], v[11:12], v[140:141]
	s_wait_loadcnt 0xc
	v_mul_f64_e32 v[81:82], v[21:22], v[148:149]
	v_mul_f64_e32 v[83:84], v[19:20], v[148:149]
	s_wait_loadcnt 0xb
	v_mul_f64_e32 v[85:86], v[25:26], v[128:129]
	v_mul_f64_e32 v[87:88], v[23:24], v[128:129]
	;; [unrolled: 3-line block ×5, first 2 shown]
	v_fma_f64 v[3:4], v[3:4], v[130:131], v[63:64]
	v_fma_f64 v[5:6], v[5:6], v[130:131], -v[65:66]
	v_fma_f64 v[7:8], v[7:8], v[166:167], v[67:68]
	s_wait_loadcnt 0x7
	v_mul_f64_e32 v[101:102], v[41:42], v[152:153]
	v_mul_f64_e32 v[103:104], v[39:40], v[152:153]
	v_fma_f64 v[9:10], v[9:10], v[166:167], -v[69:70]
	v_mov_b32_e32 v63, v125
	scratch_store_b128 off, v[126:129], off offset:24 ; 16-byte Folded Spill
	s_wait_loadcnt 0x6
	v_mul_f64_e32 v[105:106], v[45:46], v[156:157]
	v_mul_f64_e32 v[107:108], v[43:44], v[156:157]
	v_fma_f64 v[11:12], v[11:12], v[138:139], v[71:72]
	scratch_store_b64 off, v[63:64], off offset:16 ; 8-byte Folded Spill
	v_fma_f64 v[15:16], v[15:16], v[174:175], v[75:76]
	s_wait_loadcnt 0x5
	v_mul_f64_e32 v[109:110], v[49:50], v[164:165]
	v_mul_f64_e32 v[111:112], v[47:48], v[164:165]
	v_fma_f64 v[17:18], v[17:18], v[174:175], -v[77:78]
	v_fma_f64 v[13:14], v[13:14], v[138:139], -v[73:74]
	v_fma_f64 v[19:20], v[19:20], v[146:147], v[81:82]
	v_fma_f64 v[21:22], v[21:22], v[146:147], -v[83:84]
	s_wait_loadcnt 0x4
	v_mul_f64_e32 v[113:114], v[53:54], v[172:173]
	v_mul_f64_e32 v[115:116], v[51:52], v[172:173]
	s_wait_loadcnt 0x2
	v_mul_f64_e32 v[117:118], v[57:58], v[180:181]
	v_mul_f64_e32 v[119:120], v[55:56], v[180:181]
	;; [unrolled: 3-line block ×3, first 2 shown]
	v_fma_f64 v[23:24], v[23:24], v[126:127], v[85:86]
	v_fma_f64 v[25:26], v[25:26], v[126:127], -v[87:88]
	v_fma_f64 v[27:28], v[27:28], v[158:159], v[89:90]
	v_fma_f64 v[29:30], v[29:30], v[158:159], -v[91:92]
	s_clause 0x1
	scratch_store_b128 off, v[178:181], off offset:232
	scratch_store_b128 off, v[182:185], off offset:248
	v_fma_f64 v[31:32], v[31:32], v[134:135], v[93:94]
	v_fma_f64 v[33:34], v[33:34], v[134:135], -v[95:96]
	v_sub_nc_u32_e32 v63, v125, v79
	s_load_b64 s[8:9], s[0:1], 0x38
	s_load_b128 s[4:7], s[6:7], 0x0
	v_fma_f64 v[35:36], v[35:36], v[142:143], v[97:98]
	v_fma_f64 v[37:38], v[37:38], v[142:143], -v[99:100]
	v_mul_u32_u24_e32 v63, 0x4b0, v63
	v_fma_f64 v[39:40], v[39:40], v[150:151], v[101:102]
	v_fma_f64 v[41:42], v[41:42], v[150:151], -v[103:104]
	s_delay_alu instid0(VALU_DEP_3) | instskip(SKIP_3) | instid1(VALU_DEP_4)
	v_lshlrev_b32_e32 v215, 4, v63
	v_add_co_u32 v63, s14, s12, v80
	v_fma_f64 v[43:44], v[43:44], v[154:155], v[105:106]
	v_fma_f64 v[45:46], v[45:46], v[154:155], -v[107:108]
	v_add_nc_u32_e32 v82, v80, v215
	s_wait_alu 0xf1ff
	v_add_co_ci_u32_e64 v64, null, s13, 0, s14
	v_fma_f64 v[47:48], v[47:48], v[162:163], v[109:110]
	v_fma_f64 v[49:50], v[49:50], v[162:163], -v[111:112]
	scratch_store_b64 off, v[63:64], off offset:4 ; 8-byte Folded Spill
	ds_store_b128 v82, v[3:6]
	ds_store_b128 v82, v[23:26] offset:1200
	ds_store_b128 v82, v[11:14] offset:7680
	ds_store_b128 v82, v[31:34] offset:8880
	ds_store_b128 v82, v[19:22] offset:15360
	ds_store_b128 v82, v[39:42] offset:16560
	ds_store_b128 v82, v[7:10] offset:3840
	ds_store_b128 v82, v[43:46] offset:2400
	ds_store_b128 v82, v[27:30] offset:5040
	ds_store_b128 v82, v[47:50] offset:6240
	v_fma_f64 v[51:52], v[51:52], v[170:171], v[113:114]
	v_fma_f64 v[53:54], v[53:54], v[170:171], -v[115:116]
	v_fma_f64 v[55:56], v[55:56], v[178:179], v[117:118]
	v_fma_f64 v[57:58], v[57:58], v[178:179], -v[119:120]
	;; [unrolled: 2-line block ×3, first 2 shown]
	ds_store_b128 v82, v[15:18] offset:11520
	ds_store_b128 v82, v[51:54] offset:10080
	;; [unrolled: 1-line block ×5, first 2 shown]
	s_and_saveexec_b32 s14, vcc_lo
	s_cbranch_execz .LBB0_3
; %bb.2:
	v_add_co_u32 v0, s2, v0, s2
	s_wait_alu 0xf1ff
	v_add_co_ci_u32_e64 v1, s2, s3, v1, s2
	s_delay_alu instid0(VALU_DEP_2) | instskip(SKIP_1) | instid1(VALU_DEP_2)
	v_add_co_u32 v8, s2, v0, s10
	s_wait_alu 0xf1ff
	v_add_co_ci_u32_e64 v9, s2, s11, v1, s2
	global_load_b128 v[0:3], v[0:1], off
	global_load_b128 v[4:7], v[8:9], off
	scratch_load_b64 v[32:33], off, off offset:4 ; 8-byte Folded Reload
	v_add_co_u32 v16, s2, v8, s10
	s_wait_alu 0xf1ff
	v_add_co_ci_u32_e64 v17, s2, s11, v9, s2
	s_wait_loadcnt 0x0
	s_clause 0x1
	global_load_b128 v[8:11], v[32:33], off offset:3600
	global_load_b128 v[12:15], v[32:33], off offset:7440
	v_add_co_u32 v24, s2, v16, s10
	s_wait_alu 0xf1ff
	v_add_co_ci_u32_e64 v25, s2, s11, v17, s2
	global_load_b128 v[16:19], v[16:17], off
	v_add_co_u32 v36, s2, v24, s10
	s_wait_alu 0xf1ff
	v_add_co_ci_u32_e64 v37, s2, s11, v25, s2
	global_load_b128 v[20:23], v[32:33], off offset:11280
	global_load_b128 v[24:27], v[24:25], off
	s_clause 0x1
	global_load_b128 v[28:31], v[32:33], off offset:15120
	global_load_b128 v[32:35], v[32:33], off offset:18960
	global_load_b128 v[36:39], v[36:37], off
	s_wait_loadcnt 0x7
	v_mul_f64_e32 v[40:41], v[2:3], v[10:11]
	v_mul_f64_e32 v[10:11], v[0:1], v[10:11]
	s_wait_loadcnt 0x6
	v_mul_f64_e32 v[42:43], v[6:7], v[14:15]
	v_mul_f64_e32 v[14:15], v[4:5], v[14:15]
	;; [unrolled: 3-line block ×5, first 2 shown]
	v_fma_f64 v[0:1], v[0:1], v[8:9], v[40:41]
	v_fma_f64 v[2:3], v[2:3], v[8:9], -v[10:11]
	v_fma_f64 v[4:5], v[4:5], v[12:13], v[42:43]
	v_fma_f64 v[6:7], v[6:7], v[12:13], -v[14:15]
	;; [unrolled: 2-line block ×5, first 2 shown]
	ds_store_b128 v82, v[0:3] offset:3600
	ds_store_b128 v82, v[4:7] offset:7440
	;; [unrolled: 1-line block ×5, first 2 shown]
.LBB0_3:
	s_wait_alu 0xfffe
	s_or_b32 exec_lo, exec_lo, s14
	global_wb scope:SCOPE_SE
	s_wait_storecnt_dscnt 0x0
	s_wait_kmcnt 0x0
	s_barrier_signal -1
	s_barrier_wait -1
	global_inv scope:SCOPE_SE
	ds_load_b128 v[0:3], v82
	ds_load_b128 v[4:7], v82 offset:1200
	ds_load_b128 v[72:75], v82 offset:7680
	;; [unrolled: 1-line block ×14, first 2 shown]
                                        ; implicit-def: $vgpr12_vgpr13
                                        ; implicit-def: $vgpr20_vgpr21
                                        ; implicit-def: $vgpr32_vgpr33
                                        ; implicit-def: $vgpr40_vgpr41
                                        ; implicit-def: $vgpr44_vgpr45
	s_and_saveexec_b32 s2, vcc_lo
	s_cbranch_execz .LBB0_5
; %bb.4:
	ds_load_b128 v[12:15], v82 offset:3600
	ds_load_b128 v[20:23], v82 offset:7440
	;; [unrolled: 1-line block ×5, first 2 shown]
.LBB0_5:
	s_wait_alu 0xfffe
	s_or_b32 exec_lo, exec_lo, s2
	s_wait_dscnt 0x8
	v_add_f64_e32 v[83:84], v[0:1], v[76:77]
	v_add_f64_e32 v[85:86], v[2:3], v[78:79]
	s_wait_dscnt 0x4
	v_add_f64_e32 v[87:88], v[72:73], v[68:69]
	v_add_f64_e64 v[89:90], v[74:75], -v[70:71]
	v_add_f64_e64 v[91:92], v[76:77], -v[72:73]
	;; [unrolled: 1-line block ×3, first 2 shown]
	v_add_f64_e32 v[95:96], v[74:75], v[70:71]
	v_add_f64_e64 v[103:104], v[64:65], -v[68:69]
	v_add_f64_e64 v[105:106], v[68:69], -v[64:65]
	;; [unrolled: 1-line block ×6, first 2 shown]
	v_add_f64_e32 v[101:102], v[76:77], v[64:65]
	v_add_f64_e64 v[76:77], v[76:77], -v[64:65]
	v_add_f64_e64 v[111:112], v[60:61], -v[52:53]
	;; [unrolled: 1-line block ×3, first 2 shown]
	s_wait_dscnt 0x2
	v_add_f64_e32 v[115:116], v[54:55], v[58:59]
	v_add_f64_e64 v[117:118], v[62:63], -v[54:55]
	v_add_f64_e64 v[119:120], v[62:63], -v[50:51]
	v_add_f64_e32 v[121:122], v[60:61], v[48:49]
	v_add_f64_e64 v[123:124], v[48:49], -v[56:57]
	v_add_f64_e64 v[125:126], v[50:51], -v[58:59]
	s_wait_dscnt 0x1
	v_add_f64_e32 v[127:128], v[36:37], v[24:25]
	v_add_f64_e64 v[129:130], v[38:39], -v[26:27]
	v_add_f64_e64 v[131:132], v[28:29], -v[36:37]
	;; [unrolled: 1-line block ×3, first 2 shown]
	v_add_f64_e32 v[135:136], v[38:39], v[26:27]
	v_add_f64_e64 v[137:138], v[36:37], -v[24:25]
	v_add_f64_e64 v[139:140], v[30:31], -v[38:39]
	;; [unrolled: 1-line block ×3, first 2 shown]
	s_wait_dscnt 0x0
	v_add_f64_e64 v[143:144], v[30:31], -v[18:19]
	v_add_f64_e64 v[145:146], v[28:29], -v[16:17]
	v_add_f64_e64 v[147:148], v[16:17], -v[24:25]
	v_add_f64_e64 v[149:150], v[24:25], -v[16:17]
	v_add_f64_e64 v[151:152], v[18:19], -v[26:27]
	v_add_f64_e64 v[153:154], v[26:27], -v[18:19]
	v_add_f64_e64 v[155:156], v[22:23], -v[46:47]
	v_add_f64_e32 v[83:84], v[83:84], v[72:73]
	v_add_f64_e32 v[85:86], v[85:86], v[74:75]
	v_add_f64_e64 v[72:73], v[72:73], -v[68:69]
	v_add_f64_e64 v[74:75], v[74:75], -v[78:79]
	v_add_f64_e32 v[78:79], v[78:79], v[66:67]
	v_add_f64_e64 v[157:158], v[20:21], -v[32:33]
	v_add_f64_e64 v[159:160], v[32:33], -v[20:21]
	;; [unrolled: 1-line block ×7, first 2 shown]
	s_mov_b32 s16, 0x134454ff
	s_mov_b32 s17, 0x3fee6f0e
	;; [unrolled: 1-line block ×4, first 2 shown]
	v_add_f64_e64 v[171:172], v[44:45], -v[40:41]
	v_add_f64_e64 v[173:174], v[40:41], -v[44:45]
	s_mov_b32 s2, 0x4755a5e
	s_mov_b32 s3, 0x3fe2cf23
	;; [unrolled: 1-line block ×3, first 2 shown]
	s_wait_alu 0xfffe
	s_mov_b32 s10, s2
	s_mov_b32 s14, 0x372fe950
	;; [unrolled: 1-line block ×3, first 2 shown]
	v_add_f64_e64 v[175:176], v[46:47], -v[42:43]
	v_add_f64_e64 v[177:178], v[42:43], -v[46:47]
	v_add_f64_e32 v[83:84], v[83:84], v[68:69]
	v_add_f64_e32 v[85:86], v[85:86], v[70:71]
	;; [unrolled: 1-line block ×4, first 2 shown]
	v_add_f64_e64 v[60:61], v[60:61], -v[48:49]
	v_add_f64_e32 v[64:65], v[83:84], v[64:65]
	v_add_f64_e32 v[66:67], v[85:86], v[66:67]
	v_add_f64_e32 v[68:69], v[68:69], v[52:53]
	v_add_f64_e32 v[70:71], v[70:71], v[54:55]
	v_add_f64_e32 v[83:84], v[52:53], v[56:57]
	v_add_f64_e64 v[85:86], v[54:55], -v[58:59]
	v_add_f64_e64 v[52:53], v[52:53], -v[56:57]
	v_add_f64_e64 v[54:55], v[54:55], -v[62:63]
	v_add_f64_e32 v[62:63], v[62:63], v[50:51]
	v_add_f64_e32 v[68:69], v[68:69], v[56:57]
	v_add_f64_e32 v[70:71], v[70:71], v[58:59]
	v_add_f64_e64 v[56:57], v[56:57], -v[48:49]
	v_add_f64_e64 v[58:59], v[58:59], -v[50:51]
	s_delay_alu instid0(VALU_DEP_4) | instskip(NEXT) | instid1(VALU_DEP_4)
	v_add_f64_e32 v[48:49], v[68:69], v[48:49]
	v_add_f64_e32 v[50:51], v[70:71], v[50:51]
	;; [unrolled: 1-line block ×5, first 2 shown]
	s_delay_alu instid0(VALU_DEP_3) | instskip(NEXT) | instid1(VALU_DEP_3)
	v_add_f64_e32 v[68:69], v[68:69], v[36:37]
	v_add_f64_e32 v[70:71], v[70:71], v[38:39]
	v_add_f64_e32 v[36:37], v[28:29], v[16:17]
	v_add_f64_e32 v[28:29], v[30:31], v[18:19]
	s_delay_alu instid0(VALU_DEP_4) | instskip(NEXT) | instid1(VALU_DEP_4)
	v_add_f64_e32 v[30:31], v[68:69], v[24:25]
	v_add_f64_e32 v[38:39], v[70:71], v[26:27]
	;; [unrolled: 1-line block ×4, first 2 shown]
	s_delay_alu instid0(VALU_DEP_4) | instskip(NEXT) | instid1(VALU_DEP_4)
	v_add_f64_e32 v[16:17], v[30:31], v[16:17]
	v_add_f64_e32 v[18:19], v[38:39], v[18:19]
	v_add_f64_e32 v[30:31], v[20:21], v[44:45]
	v_add_f64_e32 v[38:39], v[22:23], v[46:47]
	v_add_f64_e32 v[20:21], v[24:25], v[32:33]
	v_add_f64_e32 v[22:23], v[26:27], v[34:35]
	v_add_f64_e32 v[24:25], v[32:33], v[40:41]
	v_add_f64_e32 v[26:27], v[34:35], v[42:43]
	v_fma_f64 v[32:33], v[87:88], -0.5, v[0:1]
	v_fma_f64 v[34:35], v[95:96], -0.5, v[2:3]
	;; [unrolled: 1-line block ×6, first 2 shown]
	v_add_f64_e32 v[20:21], v[20:21], v[40:41]
	v_add_f64_e32 v[22:23], v[22:23], v[42:43]
	v_fma_f64 v[40:41], v[83:84], -0.5, v[4:5]
	v_fma_f64 v[83:84], v[24:25], -0.5, v[12:13]
	;; [unrolled: 1-line block ×3, first 2 shown]
	v_fma_f64 v[28:29], v[99:100], s[18:19], v[32:33]
	v_fma_f64 v[30:31], v[76:77], s[16:17], v[34:35]
	v_fma_f64 v[87:88], v[26:27], -0.5, v[14:15]
	v_add_f64_e32 v[24:25], v[91:92], v[103:104]
	v_add_f64_e32 v[26:27], v[97:98], v[107:108]
	v_fma_f64 v[42:43], v[115:116], -0.5, v[6:7]
	v_fma_f64 v[6:7], v[62:63], -0.5, v[6:7]
	;; [unrolled: 1-line block ×6, first 2 shown]
	v_add_f64_e32 v[68:69], v[20:21], v[44:45]
	v_add_f64_e32 v[70:71], v[22:23], v[46:47]
	v_fma_f64 v[20:21], v[99:100], s[16:17], v[32:33]
	v_fma_f64 v[22:23], v[76:77], s[18:19], v[34:35]
	v_add_f64_e32 v[32:33], v[93:94], v[105:106]
	s_wait_alu 0xfffe
	v_fma_f64 v[28:29], v[89:90], s[10:11], v[28:29]
	v_fma_f64 v[30:31], v[72:73], s[2:3], v[30:31]
	v_add_f64_e32 v[34:35], v[74:75], v[109:110]
	v_fma_f64 v[36:37], v[119:120], s[16:17], v[40:41]
	v_fma_f64 v[40:41], v[119:120], s[18:19], v[40:41]
	;; [unrolled: 1-line block ×18, first 2 shown]
	s_delay_alu instid0(VALU_DEP_4) | instskip(NEXT) | instid1(VALU_DEP_4)
	v_fma_f64 v[28:29], v[99:100], s[2:3], v[28:29]
	v_fma_f64 v[0:1], v[99:100], s[10:11], v[0:1]
	s_delay_alu instid0(VALU_DEP_4) | instskip(NEXT) | instid1(VALU_DEP_4)
	v_fma_f64 v[30:31], v[76:77], s[10:11], v[30:31]
	v_fma_f64 v[2:3], v[76:77], s[2:3], v[2:3]
	;; [unrolled: 3-line block ×4, first 2 shown]
	v_add_f64_e32 v[0:1], v[111:112], v[123:124]
	v_add_f64_e32 v[2:3], v[117:118], v[125:126]
	s_delay_alu instid0(VALU_DEP_2) | instskip(NEXT) | instid1(VALU_DEP_2)
	v_fma_f64 v[36:37], v[0:1], s[14:15], v[36:37]
	v_fma_f64 v[38:39], v[2:3], s[14:15], v[38:39]
	;; [unrolled: 1-line block ×8, first 2 shown]
	v_add_f64_e32 v[52:53], v[113:114], v[56:57]
	v_fma_f64 v[0:1], v[119:120], s[2:3], v[0:1]
	v_fma_f64 v[2:3], v[119:120], s[10:11], v[2:3]
	;; [unrolled: 1-line block ×4, first 2 shown]
	s_delay_alu instid0(VALU_DEP_4) | instskip(NEXT) | instid1(VALU_DEP_4)
	v_fma_f64 v[44:45], v[52:53], s[14:15], v[0:1]
	v_fma_f64 v[52:53], v[52:53], s[14:15], v[2:3]
	s_delay_alu instid0(VALU_DEP_4) | instskip(NEXT) | instid1(VALU_DEP_4)
	v_fma_f64 v[46:47], v[54:55], s[14:15], v[4:5]
	v_fma_f64 v[54:55], v[54:55], s[14:15], v[6:7]
	;; [unrolled: 1-line block ×4, first 2 shown]
	v_add_f64_e32 v[0:1], v[131:132], v[147:148]
	v_add_f64_e32 v[2:3], v[139:140], v[151:152]
	s_delay_alu instid0(VALU_DEP_4) | instskip(NEXT) | instid1(VALU_DEP_4)
	v_fma_f64 v[4:5], v[129:130], s[2:3], v[4:5]
	v_fma_f64 v[6:7], v[137:138], s[10:11], v[6:7]
	s_delay_alu instid0(VALU_DEP_2) | instskip(NEXT) | instid1(VALU_DEP_2)
	v_fma_f64 v[56:57], v[0:1], s[14:15], v[4:5]
	v_fma_f64 v[58:59], v[2:3], s[14:15], v[6:7]
	;; [unrolled: 1-line block ×4, first 2 shown]
	s_delay_alu instid0(VALU_DEP_2) | instskip(NEXT) | instid1(VALU_DEP_2)
	v_fma_f64 v[4:5], v[129:130], s[10:11], v[4:5]
	v_fma_f64 v[6:7], v[137:138], s[2:3], v[6:7]
	s_delay_alu instid0(VALU_DEP_2) | instskip(NEXT) | instid1(VALU_DEP_2)
	v_fma_f64 v[60:61], v[0:1], s[14:15], v[4:5]
	v_fma_f64 v[62:63], v[2:3], s[14:15], v[6:7]
	;; [unrolled: 1-line block ×6, first 2 shown]
	v_add_f64_e32 v[8:9], v[133:134], v[149:150]
	v_add_f64_e32 v[10:11], v[141:142], v[153:154]
	v_fma_f64 v[0:1], v[143:144], s[2:3], v[0:1]
	v_fma_f64 v[2:3], v[143:144], s[10:11], v[2:3]
	;; [unrolled: 1-line block ×4, first 2 shown]
	s_delay_alu instid0(VALU_DEP_4) | instskip(NEXT) | instid1(VALU_DEP_4)
	v_fma_f64 v[72:73], v[8:9], s[14:15], v[0:1]
	v_fma_f64 v[76:77], v[8:9], s[14:15], v[2:3]
	s_delay_alu instid0(VALU_DEP_4) | instskip(NEXT) | instid1(VALU_DEP_4)
	v_fma_f64 v[74:75], v[10:11], s[14:15], v[4:5]
	v_fma_f64 v[78:79], v[10:11], s[14:15], v[6:7]
	;; [unrolled: 1-line block ×6, first 2 shown]
	v_add_f64_e32 v[4:5], v[157:158], v[171:172]
	v_add_f64_e32 v[6:7], v[163:164], v[175:176]
	v_add_f64_e32 v[83:84], v[159:160], v[173:174]
	v_add_f64_e32 v[87:88], v[165:166], v[177:178]
	v_fma_f64 v[0:1], v[167:168], s[2:3], v[0:1]
	v_fma_f64 v[2:3], v[169:170], s[10:11], v[2:3]
	;; [unrolled: 1-line block ×4, first 2 shown]
	s_delay_alu instid0(VALU_DEP_4) | instskip(NEXT) | instid1(VALU_DEP_4)
	v_fma_f64 v[0:1], v[4:5], s[14:15], v[0:1]
	v_fma_f64 v[2:3], v[6:7], s[14:15], v[2:3]
	s_delay_alu instid0(VALU_DEP_4) | instskip(NEXT) | instid1(VALU_DEP_4)
	v_fma_f64 v[4:5], v[4:5], s[14:15], v[8:9]
	v_fma_f64 v[6:7], v[6:7], s[14:15], v[10:11]
	;; [unrolled: 1-line block ×6, first 2 shown]
	s_delay_alu instid0(VALU_DEP_4) | instskip(NEXT) | instid1(VALU_DEP_4)
	v_fma_f64 v[8:9], v[155:156], s[2:3], v[8:9]
	v_fma_f64 v[85:86], v[155:156], s[10:11], v[10:11]
	s_delay_alu instid0(VALU_DEP_4) | instskip(NEXT) | instid1(VALU_DEP_4)
	v_fma_f64 v[10:11], v[161:162], s[10:11], v[12:13]
	v_fma_f64 v[14:15], v[161:162], s[2:3], v[14:15]
	s_load_b64 s[2:3], s[0:1], 0x8
	s_delay_alu instid0(VALU_DEP_4) | instskip(NEXT) | instid1(VALU_DEP_4)
	v_fma_f64 v[8:9], v[83:84], s[14:15], v[8:9]
	v_fma_f64 v[12:13], v[83:84], s[14:15], v[85:86]
	scratch_load_b32 v84, off, off          ; 4-byte Folded Reload
	v_fma_f64 v[10:11], v[87:88], s[14:15], v[10:11]
	v_fma_f64 v[14:15], v[87:88], s[14:15], v[14:15]
	global_wb scope:SCOPE_SE
	s_wait_loadcnt 0x0
	s_wait_kmcnt 0x0
	s_barrier_signal -1
	s_barrier_wait -1
	global_inv scope:SCOPE_SE
	v_mul_lo_u16 v81, v84, 5
	v_add_co_u32 v200, s10, 0x4b, v84
	v_add_co_u32 v83, s11, 0x96, v84
	s_delay_alu instid0(VALU_DEP_3) | instskip(SKIP_1) | instid1(VALU_DEP_2)
	v_and_b32_e32 v81, 0xffff, v81
	v_add_co_u32 v216, null, 0xe1, v84
	v_lshl_add_u32 v81, v81, 4, v215
	ds_store_b128 v81, v[64:67]
	ds_store_b128 v81, v[20:23] offset:16
	ds_store_b128 v81, v[28:31] offset:32
	;; [unrolled: 1-line block ×3, first 2 shown]
	v_mul_u32_u24_e32 v20, 5, v200
	scratch_store_b32 off, v81, off offset:268 ; 4-byte Folded Spill
	ds_store_b128 v81, v[24:27] offset:64
	v_lshl_add_u32 v81, v20, 4, v215
	v_mul_u32_u24_e32 v20, 5, v83
	ds_store_b128 v81, v[48:51]
	ds_store_b128 v81, v[36:39] offset:16
	ds_store_b128 v81, v[44:47] offset:32
	;; [unrolled: 1-line block ×4, first 2 shown]
	v_lshl_add_u32 v20, v20, 4, v215
	ds_store_b128 v20, v[16:19]
	ds_store_b128 v20, v[56:59] offset:16
	ds_store_b128 v20, v[72:75] offset:32
	s_wait_alu 0xf1ff
	v_add_co_ci_u32_e64 v16, null, 0, 0, s10
	v_add_co_ci_u32_e64 v16, null, 0, 0, s11
	v_mul_u32_u24_e32 v16, 5, v216
	ds_store_b128 v20, v[76:79] offset:48
	ds_store_b128 v20, v[60:63] offset:64
	s_clause 0x1
	scratch_store_b32 off, v20, off offset:264
	scratch_store_b32 off, v16, off offset:352
	s_and_saveexec_b32 s0, vcc_lo
	s_cbranch_execz .LBB0_7
; %bb.6:
	v_mul_u32_u24_e32 v16, 5, v216
	s_delay_alu instid0(VALU_DEP_1)
	v_lshl_add_u32 v16, v16, 4, v215
	ds_store_b128 v16, v[68:71]
	ds_store_b128 v16, v[0:3] offset:16
	ds_store_b128 v16, v[8:11] offset:32
	;; [unrolled: 1-line block ×4, first 2 shown]
.LBB0_7:
	s_wait_alu 0xfffe
	s_or_b32 exec_lo, exec_lo, s0
	global_wb scope:SCOPE_SE
	s_wait_storecnt_dscnt 0x0
	s_barrier_signal -1
	s_barrier_wait -1
	global_inv scope:SCOPE_SE
	ds_load_b128 v[136:139], v82
	ds_load_b128 v[76:79], v82 offset:1200
	ds_load_b128 v[52:55], v82 offset:7680
	;; [unrolled: 1-line block ×14, first 2 shown]
	s_and_saveexec_b32 s0, vcc_lo
	s_cbranch_execz .LBB0_9
; %bb.8:
	ds_load_b128 v[68:71], v82 offset:3600
	ds_load_b128 v[0:3], v82 offset:7440
	;; [unrolled: 1-line block ×5, first 2 shown]
.LBB0_9:
	s_wait_alu 0xfffe
	s_or_b32 exec_lo, exec_lo, s0
	scratch_load_b32 v65, off, off          ; 4-byte Folded Reload
	s_mov_b32 s0, 0x134454ff
	s_mov_b32 s1, 0x3fee6f0e
	;; [unrolled: 1-line block ×3, first 2 shown]
	s_wait_alu 0xfffe
	s_mov_b32 s10, s0
	s_mov_b32 s14, 0x4755a5e
	;; [unrolled: 1-line block ×4, first 2 shown]
	s_wait_alu 0xfffe
	s_mov_b32 s16, s14
	s_mov_b32 s18, 0x372fe950
	;; [unrolled: 1-line block ×3, first 2 shown]
	s_wait_loadcnt 0x0
	v_and_b32_e32 v144, 0xff, v65
	s_delay_alu instid0(VALU_DEP_1) | instskip(NEXT) | instid1(VALU_DEP_1)
	v_mul_lo_u16 v64, 0xcd, v144
	v_lshrrev_b16 v145, 10, v64
	s_delay_alu instid0(VALU_DEP_1) | instskip(NEXT) | instid1(VALU_DEP_1)
	v_mul_lo_u16 v64, v145, 5
	v_sub_nc_u16 v64, v65, v64
	s_delay_alu instid0(VALU_DEP_1) | instskip(NEXT) | instid1(VALU_DEP_1)
	v_and_b32_e32 v146, 0xff, v64
	v_lshlrev_b32_e32 v66, 6, v146
	s_clause 0x1
	global_load_b128 v[84:87], v66, s[2:3]
	global_load_b128 v[88:91], v66, s[2:3] offset:32
	s_wait_loadcnt_dscnt 0x108
	v_mul_f64_e32 v[64:65], v[62:63], v[86:87]
	scratch_store_b128 off, v[84:87], off offset:272 ; 16-byte Folded Spill
	v_fma_f64 v[140:141], v[60:61], v[84:85], -v[64:65]
	v_mul_f64_e32 v[60:61], v[60:61], v[86:87]
	s_delay_alu instid0(VALU_DEP_1)
	v_fma_f64 v[60:61], v[62:63], v[84:85], v[60:61]
	s_clause 0x1
	global_load_b128 v[84:87], v66, s[2:3] offset:16
	global_load_b128 v[64:67], v66, s[2:3] offset:48
	s_wait_loadcnt 0x1
	v_mul_f64_e32 v[62:63], v[54:55], v[86:87]
	s_delay_alu instid0(VALU_DEP_1) | instskip(SKIP_1) | instid1(VALU_DEP_1)
	v_fma_f64 v[62:63], v[52:53], v[84:85], -v[62:63]
	v_mul_f64_e32 v[52:53], v[52:53], v[86:87]
	v_fma_f64 v[52:53], v[54:55], v[84:85], v[52:53]
	s_wait_dscnt 0x4
	v_mul_f64_e32 v[54:55], v[58:59], v[90:91]
	s_delay_alu instid0(VALU_DEP_1) | instskip(SKIP_1) | instid1(VALU_DEP_2)
	v_fma_f64 v[54:55], v[56:57], v[88:89], -v[54:55]
	v_mul_f64_e32 v[56:57], v[56:57], v[90:91]
	v_add_f64_e64 v[167:168], v[62:63], -v[54:55]
	s_delay_alu instid0(VALU_DEP_2) | instskip(SKIP_2) | instid1(VALU_DEP_2)
	v_fma_f64 v[56:57], v[58:59], v[88:89], v[56:57]
	s_wait_loadcnt 0x0
	v_mul_f64_e32 v[58:59], v[48:49], v[66:67]
	v_add_f64_e64 v[163:164], v[52:53], -v[56:57]
	s_delay_alu instid0(VALU_DEP_2) | instskip(SKIP_1) | instid1(VALU_DEP_2)
	v_fma_f64 v[58:59], v[50:51], v[64:65], v[58:59]
	v_mul_f64_e32 v[50:51], v[50:51], v[66:67]
	v_add_f64_e64 v[153:154], v[58:59], -v[56:57]
	s_delay_alu instid0(VALU_DEP_2) | instskip(SKIP_2) | instid1(VALU_DEP_2)
	v_fma_f64 v[50:51], v[48:49], v[64:65], -v[50:51]
	v_and_b32_e32 v48, 0xff, v200
	v_add_f64_e64 v[161:162], v[60:61], -v[58:59]
	v_mul_lo_u16 v48, 0xcd, v48
	s_delay_alu instid0(VALU_DEP_1) | instskip(NEXT) | instid1(VALU_DEP_1)
	v_lshrrev_b16 v147, 10, v48
	v_mul_lo_u16 v48, v147, 5
	s_delay_alu instid0(VALU_DEP_1) | instskip(NEXT) | instid1(VALU_DEP_1)
	v_sub_nc_u16 v48, v200, v48
	v_and_b32_e32 v148, 0xff, v48
	s_delay_alu instid0(VALU_DEP_1)
	v_lshlrev_b32_e32 v100, 6, v148
	s_clause 0x1
	global_load_b128 v[92:95], v100, s[2:3]
	global_load_b128 v[96:99], v100, s[2:3] offset:32
	v_add_f64_e64 v[165:166], v[140:141], -v[50:51]
	s_wait_loadcnt 0x1
	v_mul_f64_e32 v[48:49], v[46:47], v[94:95]
	scratch_store_b128 off, v[92:95], off offset:288 ; 16-byte Folded Spill
	v_fma_f64 v[48:49], v[44:45], v[92:93], -v[48:49]
	v_mul_f64_e32 v[44:45], v[44:45], v[94:95]
	s_delay_alu instid0(VALU_DEP_1)
	v_fma_f64 v[44:45], v[46:47], v[92:93], v[44:45]
	s_clause 0x1
	global_load_b128 v[92:95], v100, s[2:3] offset:16
	global_load_b128 v[100:103], v100, s[2:3] offset:48
	s_wait_loadcnt 0x1
	v_mul_f64_e32 v[46:47], v[38:39], v[94:95]
	s_delay_alu instid0(VALU_DEP_1) | instskip(SKIP_1) | instid1(VALU_DEP_1)
	v_fma_f64 v[46:47], v[36:37], v[92:93], -v[46:47]
	v_mul_f64_e32 v[36:37], v[36:37], v[94:95]
	v_fma_f64 v[36:37], v[38:39], v[92:93], v[36:37]
	s_wait_dscnt 0x2
	v_mul_f64_e32 v[38:39], v[42:43], v[98:99]
	s_delay_alu instid0(VALU_DEP_1) | instskip(SKIP_1) | instid1(VALU_DEP_2)
	v_fma_f64 v[38:39], v[40:41], v[96:97], -v[38:39]
	v_mul_f64_e32 v[40:41], v[40:41], v[98:99]
	v_add_f64_e64 v[171:172], v[46:47], -v[38:39]
	s_delay_alu instid0(VALU_DEP_2) | instskip(SKIP_2) | instid1(VALU_DEP_1)
	v_fma_f64 v[40:41], v[42:43], v[96:97], v[40:41]
	s_wait_loadcnt 0x0
	v_mul_f64_e32 v[42:43], v[34:35], v[102:103]
	v_fma_f64 v[42:43], v[32:33], v[100:101], -v[42:43]
	v_mul_f64_e32 v[32:33], v[32:33], v[102:103]
	s_delay_alu instid0(VALU_DEP_2) | instskip(NEXT) | instid1(VALU_DEP_2)
	v_add_f64_e64 v[169:170], v[48:49], -v[42:43]
	v_fma_f64 v[142:143], v[34:35], v[100:101], v[32:33]
	v_and_b32_e32 v32, 0xff, v83
	s_delay_alu instid0(VALU_DEP_1) | instskip(NEXT) | instid1(VALU_DEP_1)
	v_mul_lo_u16 v32, 0xcd, v32
	v_lshrrev_b16 v149, 10, v32
	s_delay_alu instid0(VALU_DEP_1) | instskip(NEXT) | instid1(VALU_DEP_1)
	v_mul_lo_u16 v32, v149, 5
	v_sub_nc_u16 v32, v83, v32
	s_delay_alu instid0(VALU_DEP_1) | instskip(NEXT) | instid1(VALU_DEP_1)
	v_and_b32_e32 v150, 0xff, v32
	v_lshlrev_b32_e32 v34, 6, v150
	s_clause 0x3
	global_load_b128 v[104:107], v34, s[2:3]
	global_load_b128 v[108:111], v34, s[2:3] offset:16
	global_load_b128 v[112:115], v34, s[2:3] offset:32
	;; [unrolled: 1-line block ×3, first 2 shown]
	s_wait_loadcnt 0x3
	v_mul_f64_e32 v[32:33], v[30:31], v[106:107]
	s_delay_alu instid0(VALU_DEP_1) | instskip(SKIP_1) | instid1(VALU_DEP_1)
	v_fma_f64 v[32:33], v[28:29], v[104:105], -v[32:33]
	v_mul_f64_e32 v[28:29], v[28:29], v[106:107]
	v_fma_f64 v[28:29], v[30:31], v[104:105], v[28:29]
	s_wait_loadcnt 0x2
	v_mul_f64_e32 v[30:31], v[26:27], v[110:111]
	s_delay_alu instid0(VALU_DEP_1) | instskip(SKIP_1) | instid1(VALU_DEP_1)
	v_fma_f64 v[30:31], v[24:25], v[108:109], -v[30:31]
	v_mul_f64_e32 v[24:25], v[24:25], v[110:111]
	v_fma_f64 v[24:25], v[26:27], v[108:109], v[24:25]
	s_wait_loadcnt_dscnt 0x101
	v_mul_f64_e32 v[26:27], v[22:23], v[114:115]
	s_delay_alu instid0(VALU_DEP_1) | instskip(SKIP_1) | instid1(VALU_DEP_1)
	v_fma_f64 v[26:27], v[20:21], v[112:113], -v[26:27]
	v_mul_f64_e32 v[20:21], v[20:21], v[114:115]
	v_fma_f64 v[20:21], v[22:23], v[112:113], v[20:21]
	s_wait_loadcnt_dscnt 0x0
	v_mul_f64_e32 v[22:23], v[18:19], v[118:119]
	s_delay_alu instid0(VALU_DEP_1) | instskip(SKIP_1) | instid1(VALU_DEP_1)
	v_fma_f64 v[22:23], v[16:17], v[116:117], -v[22:23]
	v_mul_f64_e32 v[16:17], v[16:17], v[118:119]
	v_fma_f64 v[34:35], v[18:19], v[116:117], v[16:17]
	v_and_b32_e32 v16, 0xffff, v216
	s_delay_alu instid0(VALU_DEP_1) | instskip(NEXT) | instid1(VALU_DEP_1)
	v_mul_u32_u24_e32 v16, 0xcccd, v16
	v_lshrrev_b32_e32 v151, 18, v16
	s_delay_alu instid0(VALU_DEP_1) | instskip(NEXT) | instid1(VALU_DEP_1)
	v_mul_lo_u16 v16, v151, 5
	v_sub_nc_u16 v152, v216, v16
	s_delay_alu instid0(VALU_DEP_1) | instskip(NEXT) | instid1(VALU_DEP_1)
	v_lshlrev_b16 v16, 2, v152
	v_and_b32_e32 v16, 0xffff, v16
	s_delay_alu instid0(VALU_DEP_1)
	v_lshlrev_b32_e32 v120, 4, v16
	s_clause 0x3
	global_load_b128 v[124:127], v120, s[2:3]
	global_load_b128 v[128:131], v120, s[2:3] offset:16
	global_load_b128 v[132:135], v120, s[2:3] offset:32
	;; [unrolled: 1-line block ×3, first 2 shown]
	global_wb scope:SCOPE_SE
	s_wait_loadcnt 0x0
	s_wait_storecnt 0x0
	s_barrier_signal -1
	s_barrier_wait -1
	global_inv scope:SCOPE_SE
	v_mul_f64_e32 v[16:17], v[2:3], v[126:127]
	s_delay_alu instid0(VALU_DEP_1) | instskip(SKIP_1) | instid1(VALU_DEP_1)
	v_fma_f64 v[16:17], v[0:1], v[124:125], -v[16:17]
	v_mul_f64_e32 v[0:1], v[0:1], v[126:127]
	v_fma_f64 v[18:19], v[2:3], v[124:125], v[0:1]
	v_mul_f64_e32 v[0:1], v[10:11], v[130:131]
	v_mul_f64_e32 v[2:3], v[8:9], v[130:131]
	s_delay_alu instid0(VALU_DEP_2) | instskip(SKIP_1) | instid1(VALU_DEP_3)
	v_fma_f64 v[0:1], v[8:9], v[128:129], -v[0:1]
	v_mul_f64_e32 v[8:9], v[14:15], v[134:135]
	v_fma_f64 v[2:3], v[10:11], v[128:129], v[2:3]
	v_mul_f64_e32 v[10:11], v[12:13], v[134:135]
	s_delay_alu instid0(VALU_DEP_3) | instskip(SKIP_1) | instid1(VALU_DEP_3)
	v_fma_f64 v[8:9], v[12:13], v[132:133], -v[8:9]
	v_mul_f64_e32 v[12:13], v[6:7], v[122:123]
	v_fma_f64 v[10:11], v[14:15], v[132:133], v[10:11]
	v_add_f64_e64 v[14:15], v[50:51], -v[54:55]
	s_delay_alu instid0(VALU_DEP_3) | instskip(SKIP_1) | instid1(VALU_DEP_1)
	v_fma_f64 v[12:13], v[4:5], v[120:121], -v[12:13]
	v_mul_f64_e32 v[4:5], v[4:5], v[122:123]
	v_fma_f64 v[4:5], v[6:7], v[120:121], v[4:5]
	v_add_f64_e64 v[6:7], v[140:141], -v[62:63]
	s_delay_alu instid0(VALU_DEP_1) | instskip(SKIP_1) | instid1(VALU_DEP_1)
	v_add_f64_e32 v[6:7], v[6:7], v[14:15]
	v_add_f64_e64 v[14:15], v[60:61], -v[52:53]
	v_add_f64_e32 v[14:15], v[14:15], v[153:154]
	v_add_f64_e32 v[153:154], v[62:63], v[54:55]
	s_delay_alu instid0(VALU_DEP_1) | instskip(SKIP_1) | instid1(VALU_DEP_1)
	v_fma_f64 v[157:158], v[153:154], -0.5, v[136:137]
	v_add_f64_e32 v[153:154], v[52:53], v[56:57]
	v_fma_f64 v[159:160], v[153:154], -0.5, v[138:139]
	s_delay_alu instid0(VALU_DEP_3) | instskip(SKIP_1) | instid1(VALU_DEP_3)
	v_fma_f64 v[153:154], v[161:162], s[0:1], v[157:158]
	v_fma_f64 v[157:158], v[161:162], s[10:11], v[157:158]
	;; [unrolled: 1-line block ×4, first 2 shown]
	s_delay_alu instid0(VALU_DEP_4) | instskip(SKIP_1) | instid1(VALU_DEP_4)
	v_fma_f64 v[153:154], v[163:164], s[14:15], v[153:154]
	s_wait_alu 0xfffe
	v_fma_f64 v[157:158], v[163:164], s[16:17], v[157:158]
	s_delay_alu instid0(VALU_DEP_4) | instskip(NEXT) | instid1(VALU_DEP_4)
	v_fma_f64 v[155:156], v[167:168], s[16:17], v[155:156]
	v_fma_f64 v[159:160], v[167:168], s[14:15], v[159:160]
	s_delay_alu instid0(VALU_DEP_4) | instskip(NEXT) | instid1(VALU_DEP_4)
	v_fma_f64 v[153:154], v[6:7], s[18:19], v[153:154]
	v_fma_f64 v[157:158], v[6:7], s[18:19], v[157:158]
	v_add_f64_e32 v[6:7], v[140:141], v[50:51]
	v_fma_f64 v[155:156], v[14:15], s[18:19], v[155:156]
	v_fma_f64 v[159:160], v[14:15], s[18:19], v[159:160]
	v_add_f64_e32 v[14:15], v[60:61], v[58:59]
	s_delay_alu instid0(VALU_DEP_4) | instskip(SKIP_2) | instid1(VALU_DEP_4)
	v_fma_f64 v[6:7], v[6:7], -0.5, v[136:137]
	v_add_f64_e32 v[136:137], v[136:137], v[140:141]
	v_add_f64_e64 v[140:141], v[62:63], -v[140:141]
	v_fma_f64 v[14:15], v[14:15], -0.5, v[138:139]
	v_add_f64_e32 v[138:139], v[138:139], v[60:61]
	v_add_f64_e64 v[60:61], v[52:53], -v[60:61]
	v_add_f64_e32 v[62:63], v[136:137], v[62:63]
	s_delay_alu instid0(VALU_DEP_3) | instskip(NEXT) | instid1(VALU_DEP_2)
	v_add_f64_e32 v[136:137], v[138:139], v[52:53]
	v_add_f64_e32 v[52:53], v[62:63], v[54:55]
	v_add_f64_e64 v[54:55], v[54:55], -v[50:51]
	s_delay_alu instid0(VALU_DEP_3) | instskip(SKIP_1) | instid1(VALU_DEP_4)
	v_add_f64_e32 v[62:63], v[136:137], v[56:57]
	v_add_f64_e64 v[56:57], v[56:57], -v[58:59]
	v_add_f64_e32 v[50:51], v[52:53], v[50:51]
	s_delay_alu instid0(VALU_DEP_4) | instskip(NEXT) | instid1(VALU_DEP_4)
	v_add_f64_e32 v[136:137], v[140:141], v[54:55]
	v_add_f64_e32 v[52:53], v[62:63], v[58:59]
	v_fma_f64 v[58:59], v[163:164], s[10:11], v[6:7]
	v_fma_f64 v[6:7], v[163:164], s[0:1], v[6:7]
	;; [unrolled: 1-line block ×4, first 2 shown]
	v_add_f64_e32 v[60:61], v[60:61], v[56:57]
	v_add_f64_e64 v[167:168], v[36:37], -v[40:41]
	v_fma_f64 v[54:55], v[161:162], s[14:15], v[58:59]
	v_fma_f64 v[6:7], v[161:162], s[16:17], v[6:7]
	;; [unrolled: 1-line block ×4, first 2 shown]
	v_add_f64_e64 v[62:63], v[142:143], -v[40:41]
	v_add_f64_e64 v[165:166], v[44:45], -v[142:143]
	v_fma_f64 v[54:55], v[136:137], s[18:19], v[54:55]
	v_fma_f64 v[58:59], v[136:137], s[18:19], v[6:7]
	;; [unrolled: 1-line block ×4, first 2 shown]
	v_add_f64_e64 v[6:7], v[48:49], -v[46:47]
	v_add_f64_e64 v[14:15], v[42:43], -v[38:39]
	v_add_f64_e32 v[136:137], v[36:37], v[40:41]
	s_delay_alu instid0(VALU_DEP_2) | instskip(SKIP_1) | instid1(VALU_DEP_3)
	v_add_f64_e32 v[6:7], v[6:7], v[14:15]
	v_add_f64_e64 v[14:15], v[44:45], -v[36:37]
	v_fma_f64 v[140:141], v[136:137], -0.5, v[78:79]
	s_delay_alu instid0(VALU_DEP_2) | instskip(SKIP_1) | instid1(VALU_DEP_3)
	v_add_f64_e32 v[14:15], v[14:15], v[62:63]
	v_add_f64_e32 v[62:63], v[46:47], v[38:39]
	v_fma_f64 v[138:139], v[169:170], s[10:11], v[140:141]
	v_fma_f64 v[140:141], v[169:170], s[0:1], v[140:141]
	s_delay_alu instid0(VALU_DEP_3) | instskip(NEXT) | instid1(VALU_DEP_3)
	v_fma_f64 v[62:63], v[62:63], -0.5, v[76:77]
	v_fma_f64 v[138:139], v[171:172], s[16:17], v[138:139]
	s_delay_alu instid0(VALU_DEP_3) | instskip(NEXT) | instid1(VALU_DEP_3)
	v_fma_f64 v[140:141], v[171:172], s[14:15], v[140:141]
	v_fma_f64 v[136:137], v[165:166], s[0:1], v[62:63]
	;; [unrolled: 1-line block ×3, first 2 shown]
	s_delay_alu instid0(VALU_DEP_4) | instskip(NEXT) | instid1(VALU_DEP_4)
	v_fma_f64 v[138:139], v[14:15], s[18:19], v[138:139]
	v_fma_f64 v[163:164], v[14:15], s[18:19], v[140:141]
	v_add_f64_e32 v[14:15], v[44:45], v[142:143]
	v_add_f64_e64 v[140:141], v[28:29], -v[34:35]
	v_fma_f64 v[136:137], v[167:168], s[14:15], v[136:137]
	v_fma_f64 v[62:63], v[167:168], s[16:17], v[62:63]
	s_delay_alu instid0(VALU_DEP_4) | instskip(NEXT) | instid1(VALU_DEP_3)
	v_fma_f64 v[14:15], v[14:15], -0.5, v[78:79]
	v_fma_f64 v[136:137], v[6:7], s[18:19], v[136:137]
	s_delay_alu instid0(VALU_DEP_3) | instskip(SKIP_3) | instid1(VALU_DEP_3)
	v_fma_f64 v[161:162], v[6:7], s[18:19], v[62:63]
	v_add_f64_e32 v[6:7], v[48:49], v[42:43]
	v_add_f64_e32 v[62:63], v[76:77], v[48:49]
	v_add_f64_e64 v[48:49], v[46:47], -v[48:49]
	v_fma_f64 v[6:7], v[6:7], -0.5, v[76:77]
	v_add_f64_e32 v[76:77], v[78:79], v[44:45]
	s_delay_alu instid0(VALU_DEP_4) | instskip(SKIP_1) | instid1(VALU_DEP_3)
	v_add_f64_e32 v[46:47], v[62:63], v[46:47]
	v_add_f64_e64 v[44:45], v[36:37], -v[44:45]
	v_add_f64_e32 v[62:63], v[76:77], v[36:37]
	s_delay_alu instid0(VALU_DEP_3) | instskip(NEXT) | instid1(VALU_DEP_2)
	v_add_f64_e32 v[36:37], v[46:47], v[38:39]
	v_add_f64_e32 v[46:47], v[62:63], v[40:41]
	v_add_f64_e64 v[62:63], v[38:39], -v[42:43]
	s_delay_alu instid0(VALU_DEP_3)
	v_add_f64_e32 v[36:37], v[36:37], v[42:43]
	v_add_f64_e64 v[40:41], v[40:41], -v[142:143]
	v_fma_f64 v[42:43], v[167:168], s[10:11], v[6:7]
	v_fma_f64 v[6:7], v[167:168], s[0:1], v[6:7]
	v_add_f64_e32 v[38:39], v[46:47], v[142:143]
	v_fma_f64 v[46:47], v[171:172], s[0:1], v[14:15]
	v_fma_f64 v[14:15], v[171:172], s[10:11], v[14:15]
	v_add_f64_e32 v[48:49], v[48:49], v[62:63]
	v_add_f64_e32 v[62:63], v[44:45], v[40:41]
	v_fma_f64 v[6:7], v[165:166], s[16:17], v[6:7]
	v_fma_f64 v[40:41], v[165:166], s[14:15], v[42:43]
	v_add_f64_e64 v[142:143], v[24:25], -v[20:21]
	v_add_f64_e64 v[171:172], v[30:31], -v[26:27]
	v_fma_f64 v[42:43], v[169:170], s[16:17], v[46:47]
	v_fma_f64 v[14:15], v[169:170], s[14:15], v[14:15]
	v_add_f64_e64 v[169:170], v[32:33], -v[22:23]
	v_fma_f64 v[44:45], v[48:49], s[18:19], v[6:7]
	v_add_f64_e64 v[6:7], v[32:33], -v[30:31]
	;; [unrolled: 2-line block ×3, first 2 shown]
	v_fma_f64 v[42:43], v[62:63], s[18:19], v[42:43]
	v_fma_f64 v[46:47], v[62:63], s[18:19], v[14:15]
	v_add_f64_e64 v[14:15], v[22:23], -v[26:27]
	v_add_f64_e32 v[62:63], v[24:25], v[20:21]
	s_delay_alu instid0(VALU_DEP_2) | instskip(SKIP_1) | instid1(VALU_DEP_3)
	v_add_f64_e32 v[6:7], v[6:7], v[14:15]
	v_add_f64_e64 v[14:15], v[28:29], -v[24:25]
	v_fma_f64 v[62:63], v[62:63], -0.5, v[74:75]
	s_delay_alu instid0(VALU_DEP_2) | instskip(SKIP_1) | instid1(VALU_DEP_3)
	v_add_f64_e32 v[14:15], v[14:15], v[48:49]
	v_add_f64_e32 v[48:49], v[30:31], v[26:27]
	v_fma_f64 v[78:79], v[169:170], s[10:11], v[62:63]
	v_fma_f64 v[62:63], v[169:170], s[0:1], v[62:63]
	s_delay_alu instid0(VALU_DEP_3) | instskip(NEXT) | instid1(VALU_DEP_3)
	v_fma_f64 v[48:49], v[48:49], -0.5, v[72:73]
	v_fma_f64 v[78:79], v[171:172], s[16:17], v[78:79]
	s_delay_alu instid0(VALU_DEP_3) | instskip(NEXT) | instid1(VALU_DEP_3)
	v_fma_f64 v[62:63], v[171:172], s[14:15], v[62:63]
	v_fma_f64 v[76:77], v[140:141], s[0:1], v[48:49]
	;; [unrolled: 1-line block ×3, first 2 shown]
	s_delay_alu instid0(VALU_DEP_3)
	v_fma_f64 v[167:168], v[14:15], s[18:19], v[62:63]
	v_add_f64_e32 v[62:63], v[74:75], v[28:29]
	v_fma_f64 v[78:79], v[14:15], s[18:19], v[78:79]
	v_add_f64_e32 v[14:15], v[28:29], v[34:35]
	v_add_f64_e64 v[28:29], v[24:25], -v[28:29]
	v_fma_f64 v[76:77], v[142:143], s[14:15], v[76:77]
	v_fma_f64 v[48:49], v[142:143], s[16:17], v[48:49]
	s_delay_alu instid0(VALU_DEP_4) | instskip(NEXT) | instid1(VALU_DEP_3)
	v_fma_f64 v[14:15], v[14:15], -0.5, v[74:75]
	v_fma_f64 v[76:77], v[6:7], s[18:19], v[76:77]
	s_delay_alu instid0(VALU_DEP_3) | instskip(SKIP_3) | instid1(VALU_DEP_3)
	v_fma_f64 v[165:166], v[6:7], s[18:19], v[48:49]
	v_add_f64_e32 v[48:49], v[72:73], v[32:33]
	v_add_f64_e32 v[6:7], v[32:33], v[22:23]
	v_add_f64_e64 v[32:33], v[30:31], -v[32:33]
	v_add_f64_e32 v[30:31], v[48:49], v[30:31]
	v_add_f64_e32 v[48:49], v[62:63], v[24:25]
	s_delay_alu instid0(VALU_DEP_4)
	v_fma_f64 v[6:7], v[6:7], -0.5, v[72:73]
	v_add_f64_e64 v[62:63], v[16:17], -v[12:13]
	v_add_f64_e64 v[72:73], v[0:1], -v[8:9]
	v_add_f64_e32 v[24:25], v[30:31], v[26:27]
	v_add_f64_e32 v[30:31], v[48:49], v[20:21]
	v_add_f64_e64 v[26:27], v[26:27], -v[22:23]
	v_add_f64_e64 v[20:21], v[20:21], -v[34:35]
	;; [unrolled: 1-line block ×3, first 2 shown]
	v_add_f64_e32 v[22:23], v[24:25], v[22:23]
	v_add_f64_e32 v[24:25], v[30:31], v[34:35]
	v_fma_f64 v[30:31], v[142:143], s[10:11], v[6:7]
	v_fma_f64 v[6:7], v[142:143], s[0:1], v[6:7]
	;; [unrolled: 1-line block ×4, first 2 shown]
	v_add_f64_e32 v[32:33], v[32:33], v[26:27]
	v_add_f64_e32 v[20:21], v[28:29], v[20:21]
	v_fma_f64 v[26:27], v[140:141], s[14:15], v[30:31]
	v_fma_f64 v[6:7], v[140:141], s[16:17], v[6:7]
	;; [unrolled: 1-line block ×4, first 2 shown]
	v_add_f64_e32 v[34:35], v[2:3], v[10:11]
	v_fma_f64 v[26:27], v[32:33], s[18:19], v[26:27]
	v_fma_f64 v[30:31], v[32:33], s[18:19], v[6:7]
	v_and_b32_e32 v6, 0xffff, v145
	v_fma_f64 v[32:33], v[20:21], s[18:19], v[14:15]
	v_add_f64_e64 v[14:15], v[12:13], -v[8:9]
	v_fma_f64 v[28:29], v[20:21], s[18:19], v[28:29]
	v_add_f64_e64 v[20:21], v[4:5], -v[10:11]
	v_mul_u32_u24_e32 v6, 25, v6
	v_fma_f64 v[34:35], v[34:35], -0.5, v[70:71]
	s_delay_alu instid0(VALU_DEP_2) | instskip(NEXT) | instid1(VALU_DEP_1)
	v_add_nc_u32_e32 v6, v6, v146
	v_lshl_add_u32 v145, v6, 4, v215
	v_add_f64_e64 v[6:7], v[16:17], -v[0:1]
	ds_store_b128 v145, v[50:53]
	v_add_f64_e64 v[50:51], v[2:3], -v[10:11]
	ds_store_b128 v145, v[153:156] offset:80
	ds_store_b128 v145, v[54:57] offset:160
	;; [unrolled: 1-line block ×3, first 2 shown]
	scratch_store_b32 off, v145, off offset:348 ; 4-byte Folded Spill
	ds_store_b128 v145, v[157:160] offset:320
	v_fma_f64 v[74:75], v[62:63], s[10:11], v[34:35]
	v_fma_f64 v[34:35], v[62:63], s[0:1], v[34:35]
	v_add_f64_e32 v[6:7], v[6:7], v[14:15]
	v_add_f64_e64 v[14:15], v[18:19], -v[2:3]
	s_delay_alu instid0(VALU_DEP_4) | instskip(NEXT) | instid1(VALU_DEP_4)
	v_fma_f64 v[74:75], v[72:73], s[16:17], v[74:75]
	v_fma_f64 v[34:35], v[72:73], s[14:15], v[34:35]
	s_delay_alu instid0(VALU_DEP_3) | instskip(SKIP_1) | instid1(VALU_DEP_2)
	v_add_f64_e32 v[14:15], v[14:15], v[20:21]
	v_add_f64_e32 v[20:21], v[0:1], v[8:9]
	v_fma_f64 v[142:143], v[14:15], s[18:19], v[74:75]
	s_delay_alu instid0(VALU_DEP_2) | instskip(SKIP_3) | instid1(VALU_DEP_4)
	v_fma_f64 v[20:21], v[20:21], -0.5, v[68:69]
	v_fma_f64 v[234:235], v[14:15], s[18:19], v[34:35]
	v_add_f64_e64 v[14:15], v[8:9], -v[12:13]
	v_add_f64_e32 v[34:35], v[18:19], v[4:5]
	v_fma_f64 v[52:53], v[48:49], s[0:1], v[20:21]
	v_fma_f64 v[20:21], v[48:49], s[10:11], v[20:21]
	s_delay_alu instid0(VALU_DEP_3) | instskip(NEXT) | instid1(VALU_DEP_3)
	v_fma_f64 v[34:35], v[34:35], -0.5, v[70:71]
	v_fma_f64 v[52:53], v[50:51], s[14:15], v[52:53]
	s_delay_alu instid0(VALU_DEP_3) | instskip(NEXT) | instid1(VALU_DEP_2)
	v_fma_f64 v[20:21], v[50:51], s[16:17], v[20:21]
	v_fma_f64 v[140:141], v[6:7], s[18:19], v[52:53]
	s_delay_alu instid0(VALU_DEP_2) | instskip(SKIP_2) | instid1(VALU_DEP_2)
	v_fma_f64 v[232:233], v[6:7], s[18:19], v[20:21]
	v_add_f64_e64 v[6:7], v[0:1], -v[16:17]
	v_add_f64_e64 v[52:53], v[2:3], -v[18:19]
	v_add_f64_e32 v[6:7], v[6:7], v[14:15]
	v_add_f64_e32 v[14:15], v[16:17], v[12:13]
	s_delay_alu instid0(VALU_DEP_1) | instskip(NEXT) | instid1(VALU_DEP_1)
	v_fma_f64 v[14:15], v[14:15], -0.5, v[68:69]
	v_fma_f64 v[20:21], v[50:51], s[10:11], v[14:15]
	v_fma_f64 v[14:15], v[50:51], s[0:1], v[14:15]
	;; [unrolled: 1-line block ×4, first 2 shown]
	v_add_f64_e64 v[72:73], v[10:11], -v[4:5]
	v_fma_f64 v[20:21], v[48:49], s[14:15], v[20:21]
	v_fma_f64 v[14:15], v[48:49], s[16:17], v[14:15]
	;; [unrolled: 1-line block ×4, first 2 shown]
	v_add_f64_e32 v[52:53], v[52:53], v[72:73]
	v_fma_f64 v[240:241], v[6:7], s[18:19], v[20:21]
	v_fma_f64 v[236:237], v[6:7], s[18:19], v[14:15]
	v_and_b32_e32 v6, 0xffff, v147
	s_delay_alu instid0(VALU_DEP_4) | instskip(SKIP_1) | instid1(VALU_DEP_3)
	v_fma_f64 v[242:243], v[52:53], s[18:19], v[48:49]
	v_fma_f64 v[238:239], v[52:53], s[18:19], v[34:35]
	v_mul_u32_u24_e32 v6, 25, v6
	s_delay_alu instid0(VALU_DEP_1) | instskip(NEXT) | instid1(VALU_DEP_1)
	v_add_nc_u32_e32 v6, v6, v148
	v_lshl_add_u32 v6, v6, 4, v215
	ds_store_b128 v6, v[36:39]
	ds_store_b128 v6, v[136:139] offset:80
	ds_store_b128 v6, v[40:43] offset:160
	;; [unrolled: 1-line block ×3, first 2 shown]
	scratch_store_b32 off, v6, off offset:344 ; 4-byte Folded Spill
	ds_store_b128 v6, v[161:164] offset:320
	v_and_b32_e32 v6, 0xffff, v149
	s_delay_alu instid0(VALU_DEP_1) | instskip(NEXT) | instid1(VALU_DEP_1)
	v_mul_u32_u24_e32 v6, 25, v6
	v_add_nc_u32_e32 v6, v6, v150
	s_delay_alu instid0(VALU_DEP_1)
	v_lshl_add_u32 v6, v6, 4, v215
	ds_store_b128 v6, v[22:25]
	ds_store_b128 v6, v[76:79] offset:80
	ds_store_b128 v6, v[26:29] offset:160
	;; [unrolled: 1-line block ×3, first 2 shown]
	scratch_store_b32 off, v6, off offset:340 ; 4-byte Folded Spill
	ds_store_b128 v6, v[165:168] offset:320
	v_mad_u16 v6, v151, 25, v152
	scratch_store_b32 off, v6, off offset:336 ; 4-byte Folded Spill
	s_and_saveexec_b32 s0, vcc_lo
	s_cbranch_execz .LBB0_11
; %bb.10:
	v_add_f64_e32 v[6:7], v[70:71], v[18:19]
	v_add_f64_e32 v[14:15], v[68:69], v[16:17]
	s_delay_alu instid0(VALU_DEP_2) | instskip(NEXT) | instid1(VALU_DEP_2)
	v_add_f64_e32 v[2:3], v[6:7], v[2:3]
	v_add_f64_e32 v[0:1], v[14:15], v[0:1]
	s_delay_alu instid0(VALU_DEP_2) | instskip(NEXT) | instid1(VALU_DEP_2)
	v_add_f64_e32 v[2:3], v[2:3], v[10:11]
	v_add_f64_e32 v[0:1], v[0:1], v[8:9]
	s_delay_alu instid0(VALU_DEP_2) | instskip(SKIP_4) | instid1(VALU_DEP_1)
	v_add_f64_e32 v[2:3], v[2:3], v[4:5]
	scratch_load_b32 v4, off, off offset:336 ; 4-byte Folded Reload
	v_add_f64_e32 v[0:1], v[0:1], v[12:13]
	s_wait_loadcnt 0x0
	v_and_b32_e32 v4, 0xffff, v4
	v_lshl_add_u32 v4, v4, 4, v215
	ds_store_b128 v4, v[240:243] offset:160
	ds_store_b128 v4, v[236:239] offset:240
	ds_store_b128 v4, v[0:3]
	ds_store_b128 v4, v[140:143] offset:80
	ds_store_b128 v4, v[232:235] offset:320
.LBB0_11:
	s_wait_alu 0xfffe
	s_or_b32 exec_lo, exec_lo, s0
	scratch_load_b32 v72, off, off          ; 4-byte Folded Reload
	v_mul_lo_u16 v0, v144, 41
	global_wb scope:SCOPE_SE
	s_wait_storecnt 0x0
	s_wait_loadcnt_dscnt 0x0
	s_barrier_signal -1
	s_barrier_wait -1
	global_inv scope:SCOPE_SE
	v_lshrrev_b16 v8, 10, v0
	s_mov_b32 s0, 0x667f3bcd
	s_mov_b32 s1, 0xbfe6a09e
	;; [unrolled: 1-line block ×3, first 2 shown]
	s_wait_alu 0xfffe
	s_mov_b32 s10, s0
	v_mul_lo_u16 v0, v8, 25
	s_mov_b32 s14, 0xcf328d46
	s_mov_b32 s15, 0xbfed906b
	;; [unrolled: 1-line block ×3, first 2 shown]
	s_wait_alu 0xfffe
	s_mov_b32 s20, s14
	s_mov_b32 s16, 0xa6aea964
	;; [unrolled: 1-line block ×4, first 2 shown]
	s_wait_alu 0xfffe
	s_mov_b32 s18, s16
	v_and_b32_e32 v8, 0xffff, v8
	s_delay_alu instid0(VALU_DEP_1) | instskip(SKIP_1) | instid1(VALU_DEP_1)
	v_mul_u32_u24_e32 v8, 0x190, v8
	v_sub_nc_u16 v0, v72, v0
	v_and_b32_e32 v9, 0xff, v0
	s_delay_alu instid0(VALU_DEP_1) | instskip(NEXT) | instid1(VALU_DEP_4)
	v_mad_co_u64_u32 v[10:11], null, 0xf0, v9, s[2:3]
	v_add_nc_u32_e32 v8, v8, v9
	s_clause 0x4
	global_load_b128 v[76:79], v[10:11], off offset:320
	global_load_b128 v[26:29], v[10:11], off offset:336
	;; [unrolled: 1-line block ×5, first 2 shown]
	ds_load_b128 v[0:3], v82 offset:1200
	ds_load_b128 v[4:7], v82 offset:2400
	s_clause 0x9
	global_load_b128 v[152:155], v[10:11], off offset:400
	global_load_b128 v[156:159], v[10:11], off offset:416
	;; [unrolled: 1-line block ×10, first 2 shown]
	scratch_store_b32 off, v215, off offset:12 ; 4-byte Folded Spill
	s_wait_loadcnt_dscnt 0xe01
	v_mul_f64_e32 v[12:13], v[2:3], v[78:79]
	v_mul_f64_e32 v[14:15], v[0:1], v[78:79]
	s_wait_loadcnt_dscnt 0xd00
	v_mul_f64_e32 v[16:17], v[6:7], v[28:29]
	v_mul_f64_e32 v[18:19], v[4:5], v[28:29]
	s_wait_loadcnt 0xc
	s_clause 0x1
	scratch_store_b128 off, v[22:25], off offset:304
	scratch_store_b128 off, v[26:29], off offset:320
	v_fma_f64 v[12:13], v[0:1], v[76:77], -v[12:13]
	v_fma_f64 v[14:15], v[2:3], v[76:77], v[14:15]
	ds_load_b128 v[0:3], v82 offset:3600
	v_fma_f64 v[16:17], v[4:5], v[26:27], -v[16:17]
	v_fma_f64 v[18:19], v[6:7], v[26:27], v[18:19]
	s_wait_dscnt 0x0
	v_mul_f64_e32 v[20:21], v[2:3], v[24:25]
	v_mul_f64_e32 v[4:5], v[0:1], v[24:25]
	s_delay_alu instid0(VALU_DEP_2) | instskip(NEXT) | instid1(VALU_DEP_2)
	v_fma_f64 v[20:21], v[0:1], v[22:23], -v[20:21]
	v_fma_f64 v[22:23], v[2:3], v[22:23], v[4:5]
	ds_load_b128 v[0:3], v82 offset:4800
	s_wait_loadcnt_dscnt 0xb00
	v_mul_f64_e32 v[4:5], v[2:3], v[146:147]
	s_delay_alu instid0(VALU_DEP_1) | instskip(SKIP_1) | instid1(VALU_DEP_1)
	v_fma_f64 v[24:25], v[0:1], v[144:145], -v[4:5]
	v_mul_f64_e32 v[0:1], v[0:1], v[146:147]
	v_fma_f64 v[26:27], v[2:3], v[144:145], v[0:1]
	ds_load_b128 v[0:3], v82 offset:6000
	s_wait_loadcnt_dscnt 0xa00
	v_mul_f64_e32 v[4:5], v[2:3], v[150:151]
	s_delay_alu instid0(VALU_DEP_1) | instskip(SKIP_1) | instid1(VALU_DEP_1)
	v_fma_f64 v[28:29], v[0:1], v[148:149], -v[4:5]
	v_mul_f64_e32 v[0:1], v[0:1], v[150:151]
	;; [unrolled: 7-line block ×8, first 2 shown]
	v_fma_f64 v[50:51], v[2:3], v[172:173], v[0:1]
	ds_load_b128 v[0:3], v82 offset:10800
	s_wait_dscnt 0x0
	v_mul_f64_e32 v[52:53], v[2:3], v[178:179]
	s_delay_alu instid0(VALU_DEP_1) | instskip(SKIP_1) | instid1(VALU_DEP_1)
	v_fma_f64 v[52:53], v[0:1], v[176:177], -v[52:53]
	v_mul_f64_e32 v[0:1], v[0:1], v[178:179]
	v_fma_f64 v[54:55], v[2:3], v[176:177], v[0:1]
	ds_load_b128 v[0:3], v82 offset:15600
	s_wait_dscnt 0x0
	v_mul_f64_e32 v[56:57], v[2:3], v[182:183]
	s_delay_alu instid0(VALU_DEP_1) | instskip(SKIP_1) | instid1(VALU_DEP_1)
	v_fma_f64 v[56:57], v[0:1], v[180:181], -v[56:57]
	v_mul_f64_e32 v[0:1], v[0:1], v[182:183]
	;; [unrolled: 7-line block ×3, first 2 shown]
	v_fma_f64 v[62:63], v[2:3], v[184:185], v[0:1]
	ds_load_b128 v[0:3], v82 offset:18000
	s_wait_loadcnt_dscnt 0x0
	v_mul_f64_e32 v[10:11], v[0:1], v[190:191]
	s_delay_alu instid0(VALU_DEP_1) | instskip(SKIP_1) | instid1(VALU_DEP_1)
	v_fma_f64 v[10:11], v[2:3], v[188:189], v[10:11]
	v_mul_f64_e32 v[2:3], v[2:3], v[190:191]
	v_fma_f64 v[68:69], v[0:1], v[188:189], -v[2:3]
	ds_load_b128 v[0:3], v82
	global_wb scope:SCOPE_SE
	s_wait_storecnt_dscnt 0x0
	s_barrier_signal -1
	s_barrier_wait -1
	global_inv scope:SCOPE_SE
	v_add_f64_e64 v[4:5], v[0:1], -v[4:5]
	v_add_f64_e64 v[6:7], v[2:3], -v[6:7]
	s_delay_alu instid0(VALU_DEP_2) | instskip(NEXT) | instid1(VALU_DEP_2)
	v_fma_f64 v[70:71], v[0:1], 2.0, -v[4:5]
	v_fma_f64 v[136:137], v[2:3], 2.0, -v[6:7]
	v_add_f64_e64 v[0:1], v[24:25], -v[40:41]
	v_add_f64_e64 v[2:3], v[26:27], -v[42:43]
	;; [unrolled: 1-line block ×14, first 2 shown]
	v_fma_f64 v[10:11], v[24:25], 2.0, -v[0:1]
	v_fma_f64 v[24:25], v[26:27], 2.0, -v[2:3]
	;; [unrolled: 1-line block ×14, first 2 shown]
	v_add_f64_e64 v[209:210], v[4:5], -v[2:3]
	v_add_f64_e64 v[46:47], v[40:41], -v[46:47]
	v_add_f64_e32 v[211:212], v[6:7], v[0:1]
	v_add_f64_e32 v[44:45], v[42:43], v[44:45]
	v_add_f64_e64 v[54:55], v[48:49], -v[54:55]
	v_add_f64_e64 v[60:61], v[56:57], -v[60:61]
	v_add_f64_e32 v[52:53], v[50:51], v[52:53]
	v_add_f64_e32 v[62:63], v[58:59], v[62:63]
	v_add_f64_e64 v[36:37], v[70:71], -v[10:11]
	v_add_f64_e64 v[38:39], v[136:137], -v[24:25]
	;; [unrolled: 1-line block ×8, first 2 shown]
	v_fma_f64 v[0:1], v[46:47], s[10:11], v[209:210]
	v_add_f64_e32 v[24:25], v[38:39], v[192:193]
	v_add_f64_e64 v[22:23], v[36:37], -v[194:195]
	v_fma_f64 v[32:33], v[32:33], 2.0, -v[196:197]
	v_fma_f64 v[34:35], v[34:35], 2.0, -v[198:199]
	v_add_f64_e32 v[16:17], v[198:199], v[203:204]
	v_add_f64_e64 v[14:15], v[196:197], -v[201:202]
	v_fma_f64 v[213:214], v[44:45], s[0:1], v[0:1]
	v_fma_f64 v[0:1], v[44:45], s[10:11], v[211:212]
	v_fma_f64 v[207:208], v[38:39], 2.0, -v[24:25]
	v_fma_f64 v[205:206], v[36:37], 2.0, -v[22:23]
	;; [unrolled: 1-line block ×4, first 2 shown]
	v_fma_f64 v[12:13], v[16:17], s[10:11], v[24:25]
	v_fma_f64 v[10:11], v[14:15], s[10:11], v[22:23]
	v_fma_f64 v[18:19], v[196:197], 2.0, -v[14:15]
	v_fma_f64 v[219:220], v[209:210], 2.0, -v[213:214]
	v_fma_f64 v[217:218], v[46:47], s[10:11], v[0:1]
	v_fma_f64 v[0:1], v[60:61], s[10:11], v[54:55]
	;; [unrolled: 1-line block ×3, first 2 shown]
	v_fma_f64 v[14:15], v[198:199], 2.0, -v[16:17]
	v_fma_f64 v[10:11], v[16:17], s[0:1], v[10:11]
	v_fma_f64 v[16:17], v[18:19], s[0:1], v[205:206]
	v_fma_f64 v[221:222], v[211:212], 2.0, -v[217:218]
	v_fma_f64 v[24:25], v[24:25], 2.0, -v[12:13]
	v_fma_f64 v[20:21], v[14:15], s[0:1], v[207:208]
	v_fma_f64 v[22:23], v[22:23], 2.0, -v[10:11]
	v_fma_f64 v[14:15], v[14:15], s[0:1], v[16:17]
	s_delay_alu instid0(VALU_DEP_3) | instskip(SKIP_2) | instid1(VALU_DEP_2)
	v_fma_f64 v[16:17], v[18:19], s[10:11], v[20:21]
	v_fma_f64 v[18:19], v[62:63], s[0:1], v[0:1]
	v_fma_f64 v[0:1], v[62:63], s[10:11], v[52:53]
	v_fma_f64 v[68:69], v[54:55], 2.0, -v[18:19]
	s_delay_alu instid0(VALU_DEP_2) | instskip(SKIP_1) | instid1(VALU_DEP_2)
	v_fma_f64 v[20:21], v[60:61], s[10:11], v[0:1]
	v_fma_f64 v[0:1], v[18:19], s[20:21], v[213:214]
	v_fma_f64 v[2:3], v[20:21], s[20:21], v[217:218]
	s_delay_alu instid0(VALU_DEP_2) | instskip(SKIP_1) | instid1(VALU_DEP_2)
	v_fma_f64 v[0:1], v[20:21], s[16:17], v[0:1]
	s_wait_alu 0xfffe
	v_fma_f64 v[2:3], v[18:19], s[18:19], v[2:3]
	v_fma_f64 v[18:19], v[52:53], 2.0, -v[20:21]
	v_fma_f64 v[20:21], v[68:69], s[16:17], v[219:220]
	s_delay_alu instid0(VALU_DEP_2) | instskip(NEXT) | instid1(VALU_DEP_2)
	v_fma_f64 v[223:224], v[18:19], s[16:17], v[221:222]
	v_fma_f64 v[18:19], v[18:19], s[14:15], v[20:21]
	s_delay_alu instid0(VALU_DEP_2)
	v_fma_f64 v[20:21], v[68:69], s[20:21], v[223:224]
	v_lshl_add_u32 v68, v8, 4, v215
	v_fma_f64 v[8:9], v[26:27], 2.0, -v[192:193]
	v_fma_f64 v[26:27], v[28:29], 2.0, -v[203:204]
	ds_store_b128 v68, v[10:13] offset:5600
	v_fma_f64 v[10:11], v[138:139], 2.0, -v[194:195]
	v_fma_f64 v[12:13], v[30:31], 2.0, -v[201:202]
	ds_store_b128 v68, v[22:25] offset:2400
	ds_store_b128 v68, v[14:17] offset:4000
	v_fma_f64 v[22:23], v[213:214], 2.0, -v[0:1]
	v_fma_f64 v[24:25], v[217:218], 2.0, -v[2:3]
	ds_store_b128 v68, v[18:21] offset:4400
	v_add_f64_e64 v[30:31], v[36:37], -v[8:9]
	v_add_f64_e64 v[138:139], v[32:33], -v[26:27]
	;; [unrolled: 1-line block ×4, first 2 shown]
	v_fma_f64 v[12:13], v[4:5], 2.0, -v[209:210]
	v_fma_f64 v[4:5], v[40:41], 2.0, -v[46:47]
	v_fma_f64 v[40:41], v[50:51], 2.0, -v[52:53]
	ds_store_b128 v68, v[22:25] offset:2800
	v_fma_f64 v[22:23], v[205:206], 2.0, -v[14:15]
	v_fma_f64 v[24:25], v[207:208], 2.0, -v[16:17]
	;; [unrolled: 1-line block ×4, first 2 shown]
	v_add_f64_e32 v[10:11], v[69:70], v[138:139]
	v_add_f64_e64 v[8:9], v[30:31], -v[136:137]
	s_delay_alu instid0(VALU_DEP_2) | instskip(NEXT) | instid1(VALU_DEP_2)
	v_fma_f64 v[28:29], v[69:70], 2.0, -v[10:11]
	v_fma_f64 v[26:27], v[30:31], 2.0, -v[8:9]
	ds_store_b128 v68, v[8:11] offset:4800
	v_fma_f64 v[8:9], v[48:49], 2.0, -v[54:55]
	v_fma_f64 v[10:11], v[56:57], 2.0, -v[60:61]
	;; [unrolled: 1-line block ×5, first 2 shown]
	s_delay_alu instid0(VALU_DEP_4) | instskip(NEXT) | instid1(VALU_DEP_1)
	v_fma_f64 v[44:45], v[10:11], s[0:1], v[8:9]
	v_fma_f64 v[44:45], v[42:43], s[0:1], v[44:45]
	;; [unrolled: 1-line block ×3, first 2 shown]
	s_delay_alu instid0(VALU_DEP_2) | instskip(NEXT) | instid1(VALU_DEP_2)
	v_fma_f64 v[50:51], v[8:9], 2.0, -v[44:45]
	v_fma_f64 v[10:11], v[10:11], s[10:11], v[42:43]
	v_fma_f64 v[42:43], v[6:7], s[0:1], v[48:49]
	s_delay_alu instid0(VALU_DEP_1) | instskip(SKIP_1) | instid1(VALU_DEP_1)
	v_fma_f64 v[42:43], v[4:5], s[10:11], v[42:43]
	v_fma_f64 v[4:5], v[4:5], s[0:1], v[12:13]
	;; [unrolled: 1-line block ×3, first 2 shown]
	s_delay_alu instid0(VALU_DEP_3) | instskip(SKIP_1) | instid1(VALU_DEP_3)
	v_fma_f64 v[4:5], v[10:11], s[18:19], v[42:43]
	v_cmp_gt_u16_e64 s0, 25, v72
	v_fma_f64 v[8:9], v[44:45], s[18:19], v[46:47]
	s_delay_alu instid0(VALU_DEP_3) | instskip(SKIP_1) | instid1(VALU_DEP_3)
	v_fma_f64 v[6:7], v[44:45], s[20:21], v[4:5]
	v_fma_f64 v[44:45], v[48:49], 2.0, -v[42:43]
	v_fma_f64 v[4:5], v[10:11], s[14:15], v[8:9]
	v_fma_f64 v[8:9], v[40:41], 2.0, -v[10:11]
	v_fma_f64 v[40:41], v[12:13], 2.0, -v[46:47]
	ds_store_b128 v68, v[4:7] offset:5200
	ds_store_b128 v68, v[26:29] offset:1600
	v_fma_f64 v[12:13], v[8:9], s[14:15], v[44:45]
	v_fma_f64 v[10:11], v[50:51], s[14:15], v[40:41]
	v_fma_f64 v[16:17], v[46:47], 2.0, -v[4:5]
	v_fma_f64 v[28:29], v[38:39], 2.0, -v[69:70]
	;; [unrolled: 1-line block ×3, first 2 shown]
	s_delay_alu instid0(VALU_DEP_4)
	v_fma_f64 v[8:9], v[8:9], s[16:17], v[10:11]
	v_fma_f64 v[10:11], v[50:51], s[18:19], v[12:13]
	v_fma_f64 v[12:13], v[219:220], 2.0, -v[18:19]
	v_fma_f64 v[18:19], v[42:43], 2.0, -v[6:7]
	;; [unrolled: 1-line block ×3, first 2 shown]
	v_add_f64_e64 v[4:5], v[20:21], -v[4:5]
	s_delay_alu instid0(VALU_DEP_2) | instskip(NEXT) | instid1(VALU_DEP_2)
	v_add_f64_e64 v[6:7], v[28:29], -v[6:7]
	v_fma_f64 v[26:27], v[20:21], 2.0, -v[4:5]
	ds_store_b128 v68, v[4:7] offset:3200
	ds_store_b128 v68, v[22:25] offset:800
	;; [unrolled: 1-line block ×4, first 2 shown]
	v_fma_f64 v[28:29], v[28:29], 2.0, -v[6:7]
	v_fma_f64 v[4:5], v[40:41], 2.0, -v[8:9]
	;; [unrolled: 1-line block ×3, first 2 shown]
	ds_store_b128 v68, v[8:11] offset:3600
	ds_store_b128 v68, v[26:29]
	ds_store_b128 v68, v[4:7] offset:400
	ds_store_b128 v68, v[0:3] offset:6000
	global_wb scope:SCOPE_SE
	s_wait_dscnt 0x0
	s_barrier_signal -1
	s_barrier_wait -1
	global_inv scope:SCOPE_SE
	ds_load_b128 v[20:23], v82
	ds_load_b128 v[16:19], v82 offset:1200
	ds_load_b128 v[56:59], v82 offset:12800
	;; [unrolled: 1-line block ×14, first 2 shown]
	s_and_saveexec_b32 s1, s0
	s_cbranch_execz .LBB0_13
; %bb.12:
	ds_load_b128 v[0:3], v82 offset:6000
	ds_load_b128 v[140:143], v82 offset:12400
	;; [unrolled: 1-line block ×3, first 2 shown]
.LBB0_13:
	s_wait_alu 0xfffe
	s_or_b32 exec_lo, exec_lo, s1
	scratch_load_b32 v75, off, off          ; 4-byte Folded Reload
	v_lshlrev_b32_e32 v72, 5, v200
	s_mov_b32 s11, 0xbfebb67a
	s_clause 0x1
	global_load_b128 v[200:203], v72, s[2:3] offset:6320
	global_load_b128 v[204:207], v72, s[2:3] offset:6336
	v_lshlrev_b32_e32 v72, 5, v83
	s_clause 0x1
	global_load_b128 v[208:211], v72, s[2:3] offset:6320
	global_load_b128 v[212:215], v72, s[2:3] offset:6336
	v_lshlrev_b32_e32 v72, 5, v216
	s_clause 0x1
	global_load_b128 v[216:219], v72, s[2:3] offset:6320
	global_load_b128 v[220:223], v72, s[2:3] offset:6336
	s_wait_loadcnt 0x6
	v_lshlrev_b32_e32 v71, 5, v75
	s_clause 0x1
	global_load_b128 v[192:195], v71, s[2:3] offset:6320
	global_load_b128 v[196:199], v71, s[2:3] offset:6336
	s_wait_loadcnt_dscnt 0x104
	v_mul_f64_e32 v[69:70], v[62:63], v[194:195]
	s_delay_alu instid0(VALU_DEP_1) | instskip(SKIP_1) | instid1(VALU_DEP_1)
	v_fma_f64 v[69:70], v[60:61], v[192:193], -v[69:70]
	v_mul_f64_e32 v[60:61], v[60:61], v[194:195]
	v_fma_f64 v[60:61], v[62:63], v[192:193], v[60:61]
	s_wait_loadcnt 0x0
	v_mul_f64_e32 v[62:63], v[58:59], v[198:199]
	s_delay_alu instid0(VALU_DEP_1) | instskip(SKIP_1) | instid1(VALU_DEP_1)
	v_fma_f64 v[62:63], v[56:57], v[196:197], -v[62:63]
	v_mul_f64_e32 v[56:57], v[56:57], v[198:199]
	v_fma_f64 v[56:57], v[58:59], v[196:197], v[56:57]
	v_mul_f64_e32 v[58:59], v[54:55], v[202:203]
	s_delay_alu instid0(VALU_DEP_1) | instskip(SKIP_1) | instid1(VALU_DEP_1)
	v_fma_f64 v[58:59], v[52:53], v[200:201], -v[58:59]
	v_mul_f64_e32 v[52:53], v[52:53], v[202:203]
	v_fma_f64 v[52:53], v[54:55], v[200:201], v[52:53]
	v_mul_f64_e32 v[54:55], v[50:51], v[206:207]
	s_delay_alu instid0(VALU_DEP_1) | instskip(SKIP_1) | instid1(VALU_DEP_1)
	v_fma_f64 v[54:55], v[48:49], v[204:205], -v[54:55]
	v_mul_f64_e32 v[48:49], v[48:49], v[206:207]
	v_fma_f64 v[48:49], v[50:51], v[204:205], v[48:49]
	v_mul_f64_e32 v[50:51], v[46:47], v[210:211]
	s_delay_alu instid0(VALU_DEP_1) | instskip(SKIP_1) | instid1(VALU_DEP_1)
	v_fma_f64 v[50:51], v[44:45], v[208:209], -v[50:51]
	v_mul_f64_e32 v[44:45], v[44:45], v[210:211]
	v_fma_f64 v[44:45], v[46:47], v[208:209], v[44:45]
	v_mul_f64_e32 v[46:47], v[42:43], v[214:215]
	s_delay_alu instid0(VALU_DEP_1) | instskip(SKIP_1) | instid1(VALU_DEP_1)
	v_fma_f64 v[46:47], v[40:41], v[212:213], -v[46:47]
	v_mul_f64_e32 v[40:41], v[40:41], v[214:215]
	v_fma_f64 v[40:41], v[42:43], v[212:213], v[40:41]
	s_wait_dscnt 0x2
	v_mul_f64_e32 v[42:43], v[38:39], v[218:219]
	s_delay_alu instid0(VALU_DEP_1) | instskip(SKIP_2) | instid1(VALU_DEP_2)
	v_fma_f64 v[136:137], v[36:37], v[216:217], -v[42:43]
	v_mul_f64_e32 v[36:37], v[36:37], v[218:219]
	v_add_f64_e64 v[42:43], v[58:59], -v[54:55]
	v_fma_f64 v[138:139], v[38:39], v[216:217], v[36:37]
	v_mul_f64_e32 v[36:37], v[34:35], v[222:223]
	s_delay_alu instid0(VALU_DEP_1) | instskip(SKIP_2) | instid1(VALU_DEP_2)
	v_fma_f64 v[244:245], v[32:33], v[220:221], -v[36:37]
	v_mul_f64_e32 v[32:33], v[32:33], v[222:223]
	v_add_f64_e64 v[36:37], v[52:53], -v[48:49]
	v_fma_f64 v[246:247], v[34:35], v[220:221], v[32:33]
	v_add_nc_u32_e32 v34, 0x2580, v71
	s_clause 0x1
	global_load_b128 v[224:227], v34, s[2:3] offset:6320
	global_load_b128 v[228:231], v34, s[2:3] offset:6336
	s_wait_loadcnt_dscnt 0x101
	v_mul_f64_e32 v[32:33], v[30:31], v[226:227]
	s_delay_alu instid0(VALU_DEP_1) | instskip(SKIP_2) | instid1(VALU_DEP_2)
	v_fma_f64 v[248:249], v[28:29], v[224:225], -v[32:33]
	v_mul_f64_e32 v[28:29], v[28:29], v[226:227]
	v_add_f64_e64 v[32:33], v[69:70], -v[62:63]
	v_fma_f64 v[250:251], v[30:31], v[224:225], v[28:29]
	s_wait_loadcnt_dscnt 0x0
	v_mul_f64_e32 v[28:29], v[26:27], v[230:231]
	s_delay_alu instid0(VALU_DEP_1) | instskip(SKIP_1) | instid1(VALU_DEP_1)
	v_fma_f64 v[252:253], v[24:25], v[228:229], -v[28:29]
	v_mul_f64_e32 v[24:25], v[24:25], v[230:231]
	v_fma_f64 v[254:255], v[26:27], v[228:229], v[24:25]
	v_add_co_u32 v24, s1, 0x177, v75
	v_add_co_u32 v25, s10, 0xffffffe7, v75
	s_wait_alu 0xf1ff
	v_add_co_ci_u32_e64 v26, null, 0, -1, s10
	s_delay_alu instid0(VALU_DEP_2) | instskip(SKIP_1) | instid1(VALU_DEP_1)
	v_cndmask_b32_e64 v24, v25, v24, s0
	v_add_co_ci_u32_e64 v25, null, 0, 0, s1
	v_cndmask_b32_e64 v25, v26, v25, s0
	s_delay_alu instid0(VALU_DEP_1) | instskip(NEXT) | instid1(VALU_DEP_1)
	v_lshlrev_b64_e32 v[24:25], 5, v[24:25]
	v_add_co_u32 v24, s1, s2, v24
	s_wait_alu 0xf1ff
	s_delay_alu instid0(VALU_DEP_2)
	v_add_co_ci_u32_e64 v25, s1, s3, v25, s1
	s_mov_b32 s2, 0xe8584caa
	s_mov_b32 s3, 0x3febb67a
	s_wait_alu 0xfffe
	s_mov_b32 s10, s2
	global_load_b128 v[28:31], v[24:25], off offset:6320
	s_wait_loadcnt 0x0
	v_mul_f64_e32 v[26:27], v[142:143], v[30:31]
	scratch_store_b128 off, v[28:31], off offset:356 ; 16-byte Folded Spill
	v_fma_f64 v[71:72], v[140:141], v[28:29], -v[26:27]
	v_mul_f64_e32 v[26:27], v[140:141], v[30:31]
	s_delay_alu instid0(VALU_DEP_1)
	v_fma_f64 v[73:74], v[142:143], v[28:29], v[26:27]
	global_load_b128 v[26:29], v[24:25], off offset:6336
	s_wait_loadcnt 0x0
	v_mul_f64_e32 v[24:25], v[242:243], v[28:29]
	scratch_store_b128 off, v[26:29], off offset:372 ; 16-byte Folded Spill
	v_fma_f64 v[140:141], v[240:241], v[26:27], -v[24:25]
	v_mul_f64_e32 v[24:25], v[240:241], v[28:29]
	v_add_f64_e64 v[28:29], v[60:61], -v[56:57]
	s_delay_alu instid0(VALU_DEP_2) | instskip(SKIP_1) | instid1(VALU_DEP_1)
	v_fma_f64 v[142:143], v[242:243], v[26:27], v[24:25]
	v_add_f64_e32 v[24:25], v[69:70], v[62:63]
	v_fma_f64 v[26:27], v[24:25], -0.5, v[20:21]
	v_add_f64_e32 v[24:25], v[60:61], v[56:57]
	v_add_f64_e32 v[20:21], v[20:21], v[69:70]
	v_add_f64_e64 v[69:70], v[248:249], -v[252:253]
	s_delay_alu instid0(VALU_DEP_3)
	v_fma_f64 v[30:31], v[24:25], -0.5, v[22:23]
	v_fma_f64 v[24:25], v[28:29], s[2:3], v[26:27]
	s_wait_alu 0xfffe
	v_fma_f64 v[28:29], v[28:29], s[10:11], v[26:27]
	v_add_f64_e32 v[22:23], v[22:23], v[60:61]
	v_add_f64_e32 v[20:21], v[20:21], v[62:63]
	v_add_f64_e64 v[60:61], v[250:251], -v[254:255]
	v_fma_f64 v[26:27], v[32:33], s[10:11], v[30:31]
	v_fma_f64 v[30:31], v[32:33], s[2:3], v[30:31]
	v_add_f64_e32 v[32:33], v[58:59], v[54:55]
	v_add_f64_e32 v[22:23], v[22:23], v[56:57]
	v_add_f64_e64 v[56:57], v[136:137], -v[244:245]
	s_delay_alu instid0(VALU_DEP_3) | instskip(SKIP_2) | instid1(VALU_DEP_2)
	v_fma_f64 v[34:35], v[32:33], -0.5, v[16:17]
	v_add_f64_e32 v[32:33], v[52:53], v[48:49]
	v_add_f64_e32 v[16:17], v[16:17], v[58:59]
	v_fma_f64 v[38:39], v[32:33], -0.5, v[18:19]
	v_add_f64_e32 v[18:19], v[18:19], v[52:53]
	v_fma_f64 v[32:33], v[36:37], s[2:3], v[34:35]
	v_fma_f64 v[36:37], v[36:37], s[10:11], v[34:35]
	v_add_f64_e32 v[16:17], v[16:17], v[54:55]
	v_add_f64_e64 v[52:53], v[138:139], -v[246:247]
	v_fma_f64 v[34:35], v[42:43], s[10:11], v[38:39]
	v_fma_f64 v[38:39], v[42:43], s[2:3], v[38:39]
	v_add_f64_e32 v[42:43], v[50:51], v[46:47]
	v_add_f64_e32 v[18:19], v[18:19], v[48:49]
	;; [unrolled: 1-line block ×3, first 2 shown]
	s_delay_alu instid0(VALU_DEP_3) | instskip(SKIP_1) | instid1(VALU_DEP_3)
	v_fma_f64 v[42:43], v[42:43], -0.5, v[12:13]
	v_add_f64_e32 v[12:13], v[12:13], v[50:51]
	v_fma_f64 v[48:49], v[48:49], -0.5, v[14:15]
	v_add_f64_e32 v[14:15], v[14:15], v[44:45]
	v_add_f64_e64 v[44:45], v[44:45], -v[40:41]
	s_delay_alu instid0(VALU_DEP_4) | instskip(SKIP_1) | instid1(VALU_DEP_4)
	v_add_f64_e32 v[12:13], v[12:13], v[46:47]
	v_add_f64_e64 v[46:47], v[50:51], -v[46:47]
	v_add_f64_e32 v[14:15], v[14:15], v[40:41]
	s_delay_alu instid0(VALU_DEP_4) | instskip(SKIP_1) | instid1(VALU_DEP_4)
	v_fma_f64 v[40:41], v[44:45], s[2:3], v[42:43]
	v_fma_f64 v[44:45], v[44:45], s[10:11], v[42:43]
	;; [unrolled: 1-line block ×4, first 2 shown]
	v_add_f64_e32 v[48:49], v[136:137], v[244:245]
	s_delay_alu instid0(VALU_DEP_1) | instskip(SKIP_3) | instid1(VALU_DEP_3)
	v_fma_f64 v[50:51], v[48:49], -0.5, v[8:9]
	v_add_f64_e32 v[48:49], v[138:139], v[246:247]
	v_add_f64_e32 v[8:9], v[8:9], v[136:137]
	;; [unrolled: 1-line block ×3, first 2 shown]
	v_fma_f64 v[54:55], v[48:49], -0.5, v[10:11]
	v_fma_f64 v[48:49], v[52:53], s[2:3], v[50:51]
	v_fma_f64 v[52:53], v[52:53], s[10:11], v[50:51]
	v_add_f64_e32 v[10:11], v[10:11], v[138:139]
	v_fma_f64 v[136:137], v[136:137], -0.5, v[2:3]
	v_add_f64_e32 v[2:3], v[2:3], v[73:74]
	v_add_f64_e64 v[73:74], v[73:74], -v[142:143]
	v_add_f64_e32 v[8:9], v[8:9], v[244:245]
	v_fma_f64 v[50:51], v[56:57], s[10:11], v[54:55]
	v_fma_f64 v[54:55], v[56:57], s[2:3], v[54:55]
	v_add_f64_e32 v[56:57], v[248:249], v[252:253]
	v_add_f64_e32 v[10:11], v[10:11], v[246:247]
	s_delay_alu instid0(VALU_DEP_2) | instskip(SKIP_2) | instid1(VALU_DEP_2)
	v_fma_f64 v[58:59], v[56:57], -0.5, v[4:5]
	v_add_f64_e32 v[56:57], v[250:251], v[254:255]
	v_add_f64_e32 v[4:5], v[4:5], v[248:249]
	v_fma_f64 v[62:63], v[56:57], -0.5, v[6:7]
	s_delay_alu instid0(VALU_DEP_4)
	v_fma_f64 v[56:57], v[60:61], s[2:3], v[58:59]
	v_fma_f64 v[60:61], v[60:61], s[10:11], v[58:59]
	v_add_f64_e32 v[6:7], v[6:7], v[250:251]
	v_add_f64_e32 v[250:251], v[2:3], v[142:143]
	;; [unrolled: 1-line block ×3, first 2 shown]
	v_fma_f64 v[58:59], v[69:70], s[10:11], v[62:63]
	v_fma_f64 v[62:63], v[69:70], s[2:3], v[62:63]
	v_add_f64_e32 v[69:70], v[71:72], v[140:141]
	v_add_f64_e32 v[6:7], v[6:7], v[254:255]
	s_delay_alu instid0(VALU_DEP_2) | instskip(SKIP_1) | instid1(VALU_DEP_2)
	v_fma_f64 v[69:70], v[69:70], -0.5, v[0:1]
	v_add_f64_e32 v[0:1], v[0:1], v[71:72]
	v_fma_f64 v[240:241], v[73:74], s[2:3], v[69:70]
	s_delay_alu instid0(VALU_DEP_2) | instskip(SKIP_2) | instid1(VALU_DEP_2)
	v_add_f64_e32 v[248:249], v[0:1], v[140:141]
	v_add_f64_e64 v[0:1], v[71:72], -v[140:141]
	v_fma_f64 v[244:245], v[73:74], s[10:11], v[69:70]
	v_fma_f64 v[242:243], v[0:1], s[10:11], v[136:137]
	v_fma_f64 v[246:247], v[0:1], s[2:3], v[136:137]
	scratch_load_b32 v0, off, off offset:12 ; 4-byte Folded Reload
	s_wait_loadcnt 0x0
	v_lshl_add_u32 v83, v75, 4, v0
	ds_store_b128 v83, v[24:27] offset:6400
	ds_store_b128 v83, v[28:31] offset:12800
	ds_store_b128 v82, v[20:23]
	ds_store_b128 v82, v[16:19] offset:1200
	ds_store_b128 v83, v[32:35] offset:7600
	;; [unrolled: 1-line block ×12, first 2 shown]
	s_and_saveexec_b32 s1, s0
	s_cbranch_execz .LBB0_15
; %bb.14:
	ds_store_b128 v83, v[248:251] offset:6000
	ds_store_b128 v83, v[240:243] offset:12400
	;; [unrolled: 1-line block ×3, first 2 shown]
.LBB0_15:
	s_wait_alu 0xfffe
	s_or_b32 exec_lo, exec_lo, s1
	global_wb scope:SCOPE_SE
	s_wait_storecnt_dscnt 0x0
	s_barrier_signal -1
	s_barrier_wait -1
	global_inv scope:SCOPE_SE
	scratch_load_b64 v[0:1], off, off offset:4 ; 8-byte Folded Reload
	s_add_nc_u64 s[2:3], s[12:13], 0x4b00
	s_wait_loadcnt 0x0
	s_clause 0x4
	global_load_b128 v[0:3], v[0:1], off offset:19200
	global_load_b128 v[4:7], v80, s[2:3] offset:3840
	global_load_b128 v[8:11], v80, s[2:3] offset:7680
	;; [unrolled: 1-line block ×4, first 2 shown]
	ds_load_b128 v[20:23], v82
	s_wait_loadcnt_dscnt 0x400
	v_mul_f64_e32 v[24:25], v[22:23], v[2:3]
	v_mul_f64_e32 v[2:3], v[20:21], v[2:3]
	s_delay_alu instid0(VALU_DEP_2) | instskip(NEXT) | instid1(VALU_DEP_2)
	v_fma_f64 v[20:21], v[20:21], v[0:1], -v[24:25]
	v_fma_f64 v[22:23], v[22:23], v[0:1], v[2:3]
	ds_load_b128 v[0:3], v82 offset:3840
	s_wait_loadcnt_dscnt 0x300
	v_mul_f64_e32 v[24:25], v[2:3], v[6:7]
	v_mul_f64_e32 v[6:7], v[0:1], v[6:7]
	s_delay_alu instid0(VALU_DEP_2) | instskip(NEXT) | instid1(VALU_DEP_2)
	v_fma_f64 v[0:1], v[0:1], v[4:5], -v[24:25]
	v_fma_f64 v[2:3], v[2:3], v[4:5], v[6:7]
	ds_load_b128 v[4:7], v82 offset:7680
	;; [unrolled: 7-line block ×4, first 2 shown]
	s_wait_loadcnt_dscnt 0x0
	v_mul_f64_e32 v[24:25], v[14:15], v[18:19]
	v_mul_f64_e32 v[18:19], v[12:13], v[18:19]
	s_delay_alu instid0(VALU_DEP_2) | instskip(NEXT) | instid1(VALU_DEP_2)
	v_fma_f64 v[12:13], v[12:13], v[16:17], -v[24:25]
	v_fma_f64 v[14:15], v[14:15], v[16:17], v[18:19]
	global_load_b128 v[16:19], v80, s[2:3] offset:1200
	ds_load_b128 v[24:27], v82 offset:1200
	s_wait_loadcnt_dscnt 0x0
	v_mul_f64_e32 v[28:29], v[26:27], v[18:19]
	v_mul_f64_e32 v[18:19], v[24:25], v[18:19]
	s_delay_alu instid0(VALU_DEP_2) | instskip(NEXT) | instid1(VALU_DEP_2)
	v_fma_f64 v[24:25], v[24:25], v[16:17], -v[28:29]
	v_fma_f64 v[26:27], v[26:27], v[16:17], v[18:19]
	global_load_b128 v[16:19], v80, s[2:3] offset:5040
	ds_load_b128 v[28:31], v82 offset:5040
	;; [unrolled: 8-line block ×10, first 2 shown]
	s_wait_loadcnt_dscnt 0x0
	v_mul_f64_e32 v[69:70], v[62:63], v[18:19]
	v_mul_f64_e32 v[18:19], v[60:61], v[18:19]
	s_delay_alu instid0(VALU_DEP_2) | instskip(NEXT) | instid1(VALU_DEP_2)
	v_fma_f64 v[60:61], v[60:61], v[16:17], -v[69:70]
	v_fma_f64 v[62:63], v[62:63], v[16:17], v[18:19]
	ds_store_b128 v82, v[20:23]
	ds_store_b128 v82, v[0:3] offset:3840
	ds_store_b128 v82, v[4:7] offset:7680
	;; [unrolled: 1-line block ×14, first 2 shown]
	s_and_saveexec_b32 s1, vcc_lo
	s_cbranch_execz .LBB0_17
; %bb.16:
	s_wait_alu 0xfffe
	v_add_co_u32 v16, s2, s2, v80
	s_wait_alu 0xf1ff
	v_add_co_ci_u32_e64 v17, null, s3, 0, s2
	s_clause 0x4
	global_load_b128 v[0:3], v[16:17], off offset:3600
	global_load_b128 v[4:7], v[16:17], off offset:7440
	;; [unrolled: 1-line block ×5, first 2 shown]
	ds_load_b128 v[20:23], v83 offset:3600
	s_wait_loadcnt_dscnt 0x400
	v_mul_f64_e32 v[24:25], v[22:23], v[2:3]
	v_mul_f64_e32 v[2:3], v[20:21], v[2:3]
	s_delay_alu instid0(VALU_DEP_2) | instskip(NEXT) | instid1(VALU_DEP_2)
	v_fma_f64 v[20:21], v[20:21], v[0:1], -v[24:25]
	v_fma_f64 v[22:23], v[22:23], v[0:1], v[2:3]
	ds_store_b128 v83, v[20:23] offset:3600
	ds_load_b128 v[0:3], v82 offset:7440
	ds_load_b128 v[20:23], v82 offset:11280
	s_wait_loadcnt_dscnt 0x301
	v_mul_f64_e32 v[24:25], v[2:3], v[6:7]
	v_mul_f64_e32 v[6:7], v[0:1], v[6:7]
	s_wait_loadcnt_dscnt 0x200
	v_mul_f64_e32 v[28:29], v[22:23], v[10:11]
	v_mul_f64_e32 v[10:11], v[20:21], v[10:11]
	s_delay_alu instid0(VALU_DEP_4) | instskip(NEXT) | instid1(VALU_DEP_4)
	v_fma_f64 v[0:1], v[0:1], v[4:5], -v[24:25]
	v_fma_f64 v[2:3], v[2:3], v[4:5], v[6:7]
	ds_load_b128 v[4:7], v82 offset:15120
	ds_load_b128 v[24:27], v82 offset:18960
	v_fma_f64 v[20:21], v[20:21], v[8:9], -v[28:29]
	v_fma_f64 v[22:23], v[22:23], v[8:9], v[10:11]
	s_wait_loadcnt_dscnt 0x101
	v_mul_f64_e32 v[8:9], v[6:7], v[14:15]
	v_mul_f64_e32 v[10:11], v[4:5], v[14:15]
	s_wait_loadcnt_dscnt 0x0
	v_mul_f64_e32 v[14:15], v[26:27], v[18:19]
	v_mul_f64_e32 v[18:19], v[24:25], v[18:19]
	s_delay_alu instid0(VALU_DEP_4) | instskip(NEXT) | instid1(VALU_DEP_4)
	v_fma_f64 v[4:5], v[4:5], v[12:13], -v[8:9]
	v_fma_f64 v[6:7], v[6:7], v[12:13], v[10:11]
	s_delay_alu instid0(VALU_DEP_4) | instskip(NEXT) | instid1(VALU_DEP_4)
	v_fma_f64 v[8:9], v[24:25], v[16:17], -v[14:15]
	v_fma_f64 v[10:11], v[26:27], v[16:17], v[18:19]
	ds_store_b128 v82, v[0:3] offset:7440
	ds_store_b128 v82, v[20:23] offset:11280
	;; [unrolled: 1-line block ×4, first 2 shown]
.LBB0_17:
	s_wait_alu 0xfffe
	s_or_b32 exec_lo, exec_lo, s1
	global_wb scope:SCOPE_SE
	s_wait_dscnt 0x0
	s_barrier_signal -1
	s_barrier_wait -1
	global_inv scope:SCOPE_SE
	ds_load_b128 v[12:15], v82
	ds_load_b128 v[44:47], v82 offset:1200
	ds_load_b128 v[36:39], v82 offset:7680
	;; [unrolled: 1-line block ×14, first 2 shown]
	s_and_saveexec_b32 s1, vcc_lo
	s_cbranch_execz .LBB0_19
; %bb.18:
	ds_load_b128 v[248:251], v83 offset:3600
	ds_load_b128 v[240:243], v83 offset:7440
	;; [unrolled: 1-line block ×5, first 2 shown]
.LBB0_19:
	s_wait_alu 0xfffe
	s_or_b32 exec_lo, exec_lo, s1
	s_wait_dscnt 0x8
	v_add_f64_e32 v[0:1], v[12:13], v[48:49]
	v_add_f64_e64 v[2:3], v[50:51], -v[34:35]
	s_mov_b32 s14, 0x134454ff
	s_mov_b32 s15, 0xbfee6f0e
	s_wait_dscnt 0x4
	v_add_f64_e64 v[10:11], v[38:39], -v[42:43]
	v_add_f64_e64 v[8:9], v[48:49], -v[36:37]
	;; [unrolled: 1-line block ×3, first 2 shown]
	s_mov_b32 s2, 0x4755a5e
	s_mov_b32 s3, 0xbfe2cf23
	;; [unrolled: 1-line block ×5, first 2 shown]
	s_wait_alu 0xfffe
	s_mov_b32 s12, s14
	s_mov_b32 s17, 0x3fe2cf23
	;; [unrolled: 1-line block ×3, first 2 shown]
	v_add_f64_e64 v[18:19], v[40:41], -v[32:33]
	s_wait_dscnt 0x2
	v_add_f64_e64 v[69:70], v[58:59], -v[138:139]
	s_wait_dscnt 0x0
	v_add_f64_e64 v[71:72], v[24:25], -v[20:21]
	v_add_f64_e64 v[73:74], v[234:235], -v[238:239]
	global_wb scope:SCOPE_SE
	s_barrier_signal -1
	s_barrier_wait -1
	global_inv scope:SCOPE_SE
	v_add_f64_e32 v[0:1], v[0:1], v[36:37]
	v_add_f64_e32 v[16:17], v[8:9], v[16:17]
	s_delay_alu instid0(VALU_DEP_2) | instskip(NEXT) | instid1(VALU_DEP_1)
	v_add_f64_e32 v[0:1], v[0:1], v[40:41]
	v_add_f64_e32 v[4:5], v[0:1], v[32:33]
	;; [unrolled: 1-line block ×3, first 2 shown]
	s_delay_alu instid0(VALU_DEP_1) | instskip(NEXT) | instid1(VALU_DEP_1)
	v_fma_f64 v[0:1], v[0:1], -0.5, v[12:13]
	v_fma_f64 v[6:7], v[2:3], s[14:15], v[0:1]
	s_wait_alu 0xfffe
	v_fma_f64 v[0:1], v[2:3], s[12:13], v[0:1]
	s_delay_alu instid0(VALU_DEP_2) | instskip(NEXT) | instid1(VALU_DEP_2)
	v_fma_f64 v[6:7], v[10:11], s[2:3], v[6:7]
	v_fma_f64 v[0:1], v[10:11], s[16:17], v[0:1]
	s_delay_alu instid0(VALU_DEP_2) | instskip(SKIP_1) | instid1(VALU_DEP_3)
	v_fma_f64 v[8:9], v[16:17], s[10:11], v[6:7]
	v_add_f64_e32 v[6:7], v[48:49], v[32:33]
	v_fma_f64 v[0:1], v[16:17], s[10:11], v[0:1]
	v_add_f64_e64 v[16:17], v[36:37], -v[48:49]
	v_add_f64_e64 v[32:33], v[48:49], -v[32:33]
	;; [unrolled: 1-line block ×5, first 2 shown]
	v_fma_f64 v[6:7], v[6:7], -0.5, v[12:13]
	v_add_f64_e32 v[18:19], v[16:17], v[18:19]
	s_delay_alu instid0(VALU_DEP_2) | instskip(SKIP_1) | instid1(VALU_DEP_2)
	v_fma_f64 v[12:13], v[10:11], s[12:13], v[6:7]
	v_fma_f64 v[6:7], v[10:11], s[14:15], v[6:7]
	;; [unrolled: 1-line block ×3, first 2 shown]
	s_delay_alu instid0(VALU_DEP_2) | instskip(NEXT) | instid1(VALU_DEP_2)
	v_fma_f64 v[2:3], v[2:3], s[16:17], v[6:7]
	v_fma_f64 v[16:17], v[18:19], s[10:11], v[12:13]
	s_delay_alu instid0(VALU_DEP_2) | instskip(SKIP_2) | instid1(VALU_DEP_2)
	v_fma_f64 v[12:13], v[18:19], s[10:11], v[2:3]
	v_add_f64_e32 v[2:3], v[14:15], v[50:51]
	v_add_f64_e64 v[18:19], v[50:51], -v[38:39]
	v_add_f64_e32 v[2:3], v[2:3], v[38:39]
	s_delay_alu instid0(VALU_DEP_2) | instskip(SKIP_1) | instid1(VALU_DEP_3)
	v_add_f64_e32 v[18:19], v[18:19], v[40:41]
	v_add_f64_e64 v[40:41], v[140:141], -v[60:61]
	v_add_f64_e32 v[2:3], v[2:3], v[42:43]
	s_delay_alu instid0(VALU_DEP_2) | instskip(NEXT) | instid1(VALU_DEP_2)
	v_add_f64_e32 v[48:49], v[40:41], v[48:49]
	v_add_f64_e32 v[6:7], v[2:3], v[34:35]
	;; [unrolled: 1-line block ×3, first 2 shown]
	v_add_f64_e64 v[38:39], v[38:39], -v[50:51]
	s_delay_alu instid0(VALU_DEP_2) | instskip(NEXT) | instid1(VALU_DEP_1)
	v_fma_f64 v[2:3], v[2:3], -0.5, v[14:15]
	v_fma_f64 v[10:11], v[32:33], s[12:13], v[2:3]
	v_fma_f64 v[2:3], v[32:33], s[14:15], v[2:3]
	s_delay_alu instid0(VALU_DEP_2) | instskip(NEXT) | instid1(VALU_DEP_2)
	v_fma_f64 v[10:11], v[36:37], s[16:17], v[10:11]
	v_fma_f64 v[2:3], v[36:37], s[2:3], v[2:3]
	s_delay_alu instid0(VALU_DEP_2) | instskip(NEXT) | instid1(VALU_DEP_2)
	v_fma_f64 v[10:11], v[18:19], s[10:11], v[10:11]
	v_fma_f64 v[2:3], v[18:19], s[10:11], v[2:3]
	v_add_f64_e32 v[18:19], v[50:51], v[34:35]
	v_add_f64_e64 v[34:35], v[42:43], -v[34:35]
	v_add_f64_e64 v[42:43], v[62:63], -v[138:139]
	;; [unrolled: 1-line block ×3, first 2 shown]
	s_delay_alu instid0(VALU_DEP_4) | instskip(NEXT) | instid1(VALU_DEP_4)
	v_fma_f64 v[14:15], v[18:19], -0.5, v[14:15]
	v_add_f64_e32 v[34:35], v[38:39], v[34:35]
	s_delay_alu instid0(VALU_DEP_2) | instskip(SKIP_1) | instid1(VALU_DEP_2)
	v_fma_f64 v[18:19], v[36:37], s[14:15], v[14:15]
	v_fma_f64 v[14:15], v[36:37], s[12:13], v[14:15]
	v_fma_f64 v[18:19], v[32:33], s[16:17], v[18:19]
	s_delay_alu instid0(VALU_DEP_2) | instskip(SKIP_1) | instid1(VALU_DEP_3)
	v_fma_f64 v[14:15], v[32:33], s[2:3], v[14:15]
	v_add_f64_e32 v[32:33], v[44:45], v[140:141]
	v_fma_f64 v[18:19], v[34:35], s[10:11], v[18:19]
	s_delay_alu instid0(VALU_DEP_3) | instskip(NEXT) | instid1(VALU_DEP_3)
	v_fma_f64 v[14:15], v[34:35], s[10:11], v[14:15]
	v_add_f64_e32 v[32:33], v[32:33], v[60:61]
	v_add_f64_e64 v[34:35], v[142:143], -v[58:59]
	s_delay_alu instid0(VALU_DEP_2) | instskip(NEXT) | instid1(VALU_DEP_1)
	v_add_f64_e32 v[32:33], v[32:33], v[136:137]
	v_add_f64_e32 v[36:37], v[32:33], v[56:57]
	;; [unrolled: 1-line block ×3, first 2 shown]
	s_delay_alu instid0(VALU_DEP_1) | instskip(NEXT) | instid1(VALU_DEP_1)
	v_fma_f64 v[32:33], v[32:33], -0.5, v[44:45]
	v_fma_f64 v[38:39], v[34:35], s[14:15], v[32:33]
	v_fma_f64 v[32:33], v[34:35], s[12:13], v[32:33]
	s_delay_alu instid0(VALU_DEP_2) | instskip(NEXT) | instid1(VALU_DEP_2)
	v_fma_f64 v[38:39], v[42:43], s[2:3], v[38:39]
	v_fma_f64 v[32:33], v[42:43], s[16:17], v[32:33]
	s_delay_alu instid0(VALU_DEP_2) | instskip(SKIP_1) | instid1(VALU_DEP_3)
	v_fma_f64 v[40:41], v[48:49], s[10:11], v[38:39]
	v_add_f64_e32 v[38:39], v[140:141], v[56:57]
	v_fma_f64 v[32:33], v[48:49], s[10:11], v[32:33]
	v_add_f64_e64 v[48:49], v[60:61], -v[140:141]
	v_add_f64_e64 v[56:57], v[140:141], -v[56:57]
	;; [unrolled: 1-line block ×3, first 2 shown]
	v_fma_f64 v[38:39], v[38:39], -0.5, v[44:45]
	s_delay_alu instid0(VALU_DEP_4) | instskip(NEXT) | instid1(VALU_DEP_2)
	v_add_f64_e32 v[50:51], v[48:49], v[50:51]
	v_fma_f64 v[44:45], v[42:43], s[12:13], v[38:39]
	v_fma_f64 v[38:39], v[42:43], s[14:15], v[38:39]
	s_delay_alu instid0(VALU_DEP_2) | instskip(NEXT) | instid1(VALU_DEP_2)
	v_fma_f64 v[44:45], v[34:35], s[2:3], v[44:45]
	v_fma_f64 v[34:35], v[34:35], s[16:17], v[38:39]
	s_delay_alu instid0(VALU_DEP_2) | instskip(NEXT) | instid1(VALU_DEP_2)
	v_fma_f64 v[48:49], v[50:51], s[10:11], v[44:45]
	v_fma_f64 v[44:45], v[50:51], s[10:11], v[34:35]
	v_add_f64_e32 v[34:35], v[46:47], v[142:143]
	v_add_f64_e64 v[50:51], v[142:143], -v[62:63]
	s_delay_alu instid0(VALU_DEP_2) | instskip(NEXT) | instid1(VALU_DEP_2)
	v_add_f64_e32 v[34:35], v[34:35], v[62:63]
	v_add_f64_e32 v[50:51], v[50:51], v[69:70]
	v_add_f64_e64 v[69:70], v[28:29], -v[252:253]
	s_delay_alu instid0(VALU_DEP_3) | instskip(NEXT) | instid1(VALU_DEP_2)
	v_add_f64_e32 v[34:35], v[34:35], v[138:139]
	v_add_f64_e32 v[69:70], v[69:70], v[71:72]
	v_add_f64_e64 v[71:72], v[20:21], -v[24:25]
	s_delay_alu instid0(VALU_DEP_3) | instskip(SKIP_2) | instid1(VALU_DEP_2)
	v_add_f64_e32 v[38:39], v[34:35], v[58:59]
	v_add_f64_e32 v[34:35], v[62:63], v[138:139]
	v_add_f64_e64 v[62:63], v[62:63], -v[142:143]
	v_fma_f64 v[34:35], v[34:35], -0.5, v[46:47]
	s_delay_alu instid0(VALU_DEP_1) | instskip(SKIP_1) | instid1(VALU_DEP_2)
	v_fma_f64 v[42:43], v[56:57], s[12:13], v[34:35]
	v_fma_f64 v[34:35], v[56:57], s[14:15], v[34:35]
	;; [unrolled: 1-line block ×3, first 2 shown]
	s_delay_alu instid0(VALU_DEP_2) | instskip(NEXT) | instid1(VALU_DEP_2)
	v_fma_f64 v[34:35], v[60:61], s[2:3], v[34:35]
	v_fma_f64 v[42:43], v[50:51], s[10:11], v[42:43]
	s_delay_alu instid0(VALU_DEP_2) | instskip(SKIP_2) | instid1(VALU_DEP_2)
	v_fma_f64 v[34:35], v[50:51], s[10:11], v[34:35]
	v_add_f64_e32 v[50:51], v[142:143], v[58:59]
	v_add_f64_e64 v[58:59], v[138:139], -v[58:59]
	v_fma_f64 v[46:47], v[50:51], -0.5, v[46:47]
	s_delay_alu instid0(VALU_DEP_2) | instskip(SKIP_1) | instid1(VALU_DEP_3)
	v_add_f64_e32 v[58:59], v[62:63], v[58:59]
	v_add_f64_e64 v[62:63], v[254:255], -v[22:23]
	v_fma_f64 v[50:51], v[60:61], s[14:15], v[46:47]
	v_fma_f64 v[46:47], v[60:61], s[12:13], v[46:47]
	s_delay_alu instid0(VALU_DEP_2) | instskip(NEXT) | instid1(VALU_DEP_2)
	v_fma_f64 v[50:51], v[56:57], s[16:17], v[50:51]
	v_fma_f64 v[46:47], v[56:57], s[2:3], v[46:47]
	v_add_f64_e32 v[56:57], v[52:53], v[28:29]
	s_delay_alu instid0(VALU_DEP_3) | instskip(NEXT) | instid1(VALU_DEP_3)
	v_fma_f64 v[50:51], v[58:59], s[10:11], v[50:51]
	v_fma_f64 v[46:47], v[58:59], s[10:11], v[46:47]
	s_delay_alu instid0(VALU_DEP_3) | instskip(SKIP_1) | instid1(VALU_DEP_2)
	v_add_f64_e32 v[56:57], v[56:57], v[252:253]
	v_add_f64_e64 v[58:59], v[30:31], -v[26:27]
	v_add_f64_e32 v[56:57], v[56:57], v[20:21]
	s_delay_alu instid0(VALU_DEP_1) | instskip(SKIP_2) | instid1(VALU_DEP_2)
	v_add_f64_e32 v[136:137], v[56:57], v[24:25]
	v_add_f64_e32 v[56:57], v[252:253], v[20:21]
	v_add_f64_e64 v[20:21], v[252:253], -v[20:21]
	v_fma_f64 v[56:57], v[56:57], -0.5, v[52:53]
	s_delay_alu instid0(VALU_DEP_1) | instskip(SKIP_1) | instid1(VALU_DEP_2)
	v_fma_f64 v[60:61], v[58:59], s[14:15], v[56:57]
	v_fma_f64 v[56:57], v[58:59], s[12:13], v[56:57]
	;; [unrolled: 1-line block ×3, first 2 shown]
	s_delay_alu instid0(VALU_DEP_2) | instskip(NEXT) | instid1(VALU_DEP_2)
	v_fma_f64 v[56:57], v[62:63], s[16:17], v[56:57]
	v_fma_f64 v[140:141], v[69:70], s[10:11], v[60:61]
	v_add_f64_e32 v[60:61], v[28:29], v[24:25]
	s_delay_alu instid0(VALU_DEP_3) | instskip(SKIP_2) | instid1(VALU_DEP_4)
	v_fma_f64 v[56:57], v[69:70], s[10:11], v[56:57]
	v_add_f64_e64 v[69:70], v[252:253], -v[28:29]
	v_add_f64_e64 v[24:25], v[28:29], -v[24:25]
	v_fma_f64 v[52:53], v[60:61], -0.5, v[52:53]
	s_delay_alu instid0(VALU_DEP_3) | instskip(SKIP_1) | instid1(VALU_DEP_3)
	v_add_f64_e32 v[69:70], v[69:70], v[71:72]
	v_add_f64_e64 v[71:72], v[236:237], -v[232:233]
	v_fma_f64 v[60:61], v[62:63], s[12:13], v[52:53]
	v_fma_f64 v[52:53], v[62:63], s[14:15], v[52:53]
	v_add_f64_e64 v[62:63], v[30:31], -v[254:255]
	s_delay_alu instid0(VALU_DEP_3) | instskip(NEXT) | instid1(VALU_DEP_3)
	v_fma_f64 v[60:61], v[58:59], s[2:3], v[60:61]
	v_fma_f64 v[52:53], v[58:59], s[16:17], v[52:53]
	v_add_f64_e32 v[58:59], v[54:55], v[30:31]
	s_delay_alu instid0(VALU_DEP_3) | instskip(NEXT) | instid1(VALU_DEP_3)
	v_fma_f64 v[60:61], v[69:70], s[10:11], v[60:61]
	v_fma_f64 v[52:53], v[69:70], s[10:11], v[52:53]
	s_delay_alu instid0(VALU_DEP_3) | instskip(SKIP_1) | instid1(VALU_DEP_2)
	v_add_f64_e32 v[58:59], v[58:59], v[254:255]
	v_add_f64_e64 v[69:70], v[26:27], -v[22:23]
	v_add_f64_e32 v[58:59], v[58:59], v[22:23]
	s_delay_alu instid0(VALU_DEP_2) | instskip(SKIP_1) | instid1(VALU_DEP_3)
	v_add_f64_e32 v[62:63], v[62:63], v[69:70]
	v_add_f64_e64 v[69:70], v[244:245], -v[240:241]
	v_add_f64_e32 v[138:139], v[58:59], v[26:27]
	v_add_f64_e32 v[58:59], v[254:255], v[22:23]
	v_add_f64_e64 v[22:23], v[22:23], -v[26:27]
	s_delay_alu instid0(VALU_DEP_4) | instskip(SKIP_1) | instid1(VALU_DEP_4)
	v_add_f64_e32 v[69:70], v[69:70], v[71:72]
	v_add_f64_e64 v[71:72], v[242:243], -v[246:247]
	v_fma_f64 v[58:59], v[58:59], -0.5, v[54:55]
	s_delay_alu instid0(VALU_DEP_2) | instskip(NEXT) | instid1(VALU_DEP_2)
	v_add_f64_e32 v[71:72], v[71:72], v[73:74]
	v_fma_f64 v[28:29], v[24:25], s[12:13], v[58:59]
	s_delay_alu instid0(VALU_DEP_1) | instskip(NEXT) | instid1(VALU_DEP_1)
	v_fma_f64 v[28:29], v[20:21], s[16:17], v[28:29]
	v_fma_f64 v[142:143], v[62:63], s[10:11], v[28:29]
	;; [unrolled: 1-line block ×3, first 2 shown]
	s_delay_alu instid0(VALU_DEP_1) | instskip(NEXT) | instid1(VALU_DEP_1)
	v_fma_f64 v[28:29], v[20:21], s[2:3], v[28:29]
	v_fma_f64 v[58:59], v[62:63], s[10:11], v[28:29]
	v_add_f64_e32 v[28:29], v[30:31], v[26:27]
	v_add_f64_e64 v[30:31], v[254:255], -v[30:31]
	v_add_f64_e64 v[26:27], v[242:243], -v[234:235]
	s_delay_alu instid0(VALU_DEP_3) | instskip(NEXT) | instid1(VALU_DEP_3)
	v_fma_f64 v[28:29], v[28:29], -0.5, v[54:55]
	v_add_f64_e32 v[22:23], v[30:31], v[22:23]
	v_add_f64_e64 v[30:31], v[232:233], -v[236:237]
	s_delay_alu instid0(VALU_DEP_3) | instskip(SKIP_2) | instid1(VALU_DEP_3)
	v_fma_f64 v[54:55], v[20:21], s[14:15], v[28:29]
	v_fma_f64 v[20:21], v[20:21], s[12:13], v[28:29]
	v_add_f64_e64 v[28:29], v[246:247], -v[238:239]
	v_fma_f64 v[54:55], v[24:25], s[16:17], v[54:55]
	s_delay_alu instid0(VALU_DEP_3) | instskip(SKIP_1) | instid1(VALU_DEP_3)
	v_fma_f64 v[20:21], v[24:25], s[2:3], v[20:21]
	v_add_f64_e64 v[24:25], v[240:241], -v[244:245]
	v_fma_f64 v[62:63], v[22:23], s[10:11], v[54:55]
	s_delay_alu instid0(VALU_DEP_3) | instskip(SKIP_1) | instid1(VALU_DEP_4)
	v_fma_f64 v[54:55], v[22:23], s[10:11], v[20:21]
	v_add_f64_e32 v[20:21], v[248:249], v[240:241]
	v_add_f64_e32 v[24:25], v[24:25], v[30:31]
	s_delay_alu instid0(VALU_DEP_2) | instskip(NEXT) | instid1(VALU_DEP_1)
	v_add_f64_e32 v[20:21], v[20:21], v[244:245]
	v_add_f64_e32 v[20:21], v[20:21], v[236:237]
	s_delay_alu instid0(VALU_DEP_1) | instskip(SKIP_1) | instid1(VALU_DEP_1)
	v_add_f64_e32 v[252:253], v[20:21], v[232:233]
	v_add_f64_e32 v[20:21], v[244:245], v[236:237]
	v_fma_f64 v[22:23], v[20:21], -0.5, v[248:249]
	s_delay_alu instid0(VALU_DEP_1) | instskip(SKIP_1) | instid1(VALU_DEP_2)
	v_fma_f64 v[20:21], v[26:27], s[14:15], v[22:23]
	v_fma_f64 v[22:23], v[26:27], s[12:13], v[22:23]
	;; [unrolled: 1-line block ×3, first 2 shown]
	s_delay_alu instid0(VALU_DEP_2) | instskip(NEXT) | instid1(VALU_DEP_2)
	v_fma_f64 v[22:23], v[28:29], s[16:17], v[22:23]
	v_fma_f64 v[20:21], v[24:25], s[10:11], v[20:21]
	s_delay_alu instid0(VALU_DEP_2) | instskip(SKIP_1) | instid1(VALU_DEP_1)
	v_fma_f64 v[24:25], v[24:25], s[10:11], v[22:23]
	v_add_f64_e32 v[22:23], v[240:241], v[232:233]
	v_fma_f64 v[22:23], v[22:23], -0.5, v[248:249]
	s_delay_alu instid0(VALU_DEP_1) | instskip(SKIP_1) | instid1(VALU_DEP_2)
	v_fma_f64 v[30:31], v[28:29], s[12:13], v[22:23]
	v_fma_f64 v[22:23], v[28:29], s[14:15], v[22:23]
	v_fma_f64 v[30:31], v[26:27], s[2:3], v[30:31]
	s_delay_alu instid0(VALU_DEP_2) | instskip(NEXT) | instid1(VALU_DEP_2)
	v_fma_f64 v[22:23], v[26:27], s[16:17], v[22:23]
	v_fma_f64 v[248:249], v[69:70], s[10:11], v[30:31]
	s_delay_alu instid0(VALU_DEP_2) | instskip(SKIP_4) | instid1(VALU_DEP_4)
	v_fma_f64 v[28:29], v[69:70], s[10:11], v[22:23]
	v_add_f64_e32 v[22:23], v[250:251], v[242:243]
	v_add_f64_e64 v[30:31], v[240:241], -v[232:233]
	v_add_f64_e64 v[69:70], v[244:245], -v[236:237]
	;; [unrolled: 1-line block ×3, first 2 shown]
	v_add_f64_e32 v[22:23], v[22:23], v[246:247]
	s_delay_alu instid0(VALU_DEP_1) | instskip(NEXT) | instid1(VALU_DEP_1)
	v_add_f64_e32 v[22:23], v[22:23], v[238:239]
	v_add_f64_e32 v[254:255], v[22:23], v[234:235]
	;; [unrolled: 1-line block ×3, first 2 shown]
	s_delay_alu instid0(VALU_DEP_1) | instskip(NEXT) | instid1(VALU_DEP_1)
	v_fma_f64 v[26:27], v[22:23], -0.5, v[250:251]
	v_fma_f64 v[22:23], v[30:31], s[12:13], v[26:27]
	v_fma_f64 v[26:27], v[30:31], s[14:15], v[26:27]
	s_delay_alu instid0(VALU_DEP_2) | instskip(NEXT) | instid1(VALU_DEP_2)
	v_fma_f64 v[22:23], v[69:70], s[16:17], v[22:23]
	v_fma_f64 v[26:27], v[69:70], s[2:3], v[26:27]
	s_delay_alu instid0(VALU_DEP_2) | instskip(NEXT) | instid1(VALU_DEP_2)
	v_fma_f64 v[22:23], v[71:72], s[10:11], v[22:23]
	v_fma_f64 v[26:27], v[71:72], s[10:11], v[26:27]
	v_add_f64_e32 v[71:72], v[242:243], v[234:235]
	v_add_f64_e64 v[234:235], v[238:239], -v[234:235]
	s_delay_alu instid0(VALU_DEP_2) | instskip(NEXT) | instid1(VALU_DEP_2)
	v_fma_f64 v[71:72], v[71:72], -0.5, v[250:251]
	v_add_f64_e32 v[232:233], v[232:233], v[234:235]
	s_delay_alu instid0(VALU_DEP_2) | instskip(SKIP_1) | instid1(VALU_DEP_2)
	v_fma_f64 v[73:74], v[69:70], s[14:15], v[71:72]
	v_fma_f64 v[69:70], v[69:70], s[12:13], v[71:72]
	;; [unrolled: 1-line block ×3, first 2 shown]
	s_delay_alu instid0(VALU_DEP_2)
	v_fma_f64 v[30:31], v[30:31], s[2:3], v[69:70]
	scratch_load_b32 v69, off, off offset:268 th:TH_LOAD_LU ; 4-byte Folded Reload
	s_wait_loadcnt 0x0
	ds_store_b128 v69, v[4:7]
	ds_store_b128 v69, v[8:11] offset:16
	ds_store_b128 v69, v[16:19] offset:32
	;; [unrolled: 1-line block ×4, first 2 shown]
	ds_store_b128 v81, v[36:39]
	ds_store_b128 v81, v[40:43] offset:16
	ds_store_b128 v81, v[48:51] offset:32
	ds_store_b128 v81, v[44:47] offset:48
	ds_store_b128 v81, v[32:35] offset:64
	scratch_load_b32 v0, off, off offset:264 th:TH_LOAD_LU ; 4-byte Folded Reload
	v_fma_f64 v[250:251], v[232:233], s[10:11], v[73:74]
	v_fma_f64 v[30:31], v[232:233], s[10:11], v[30:31]
	s_wait_loadcnt 0x0
	ds_store_b128 v0, v[136:139]
	ds_store_b128 v0, v[140:143] offset:16
	ds_store_b128 v0, v[60:63] offset:32
	;; [unrolled: 1-line block ×4, first 2 shown]
	s_and_saveexec_b32 s1, vcc_lo
	s_cbranch_execz .LBB0_21
; %bb.20:
	s_clause 0x1
	scratch_load_b32 v0, off, off offset:12
	scratch_load_b32 v1, off, off offset:352 th:TH_LOAD_LU
	s_wait_loadcnt 0x0
	v_lshl_add_u32 v0, v1, 4, v0
	ds_store_b128 v0, v[252:255]
	ds_store_b128 v0, v[20:23] offset:16
	ds_store_b128 v0, v[248:251] offset:32
	ds_store_b128 v0, v[28:31] offset:48
	ds_store_b128 v0, v[24:27] offset:64
.LBB0_21:
	s_wait_alu 0xfffe
	s_or_b32 exec_lo, exec_lo, s1
	global_wb scope:SCOPE_SE
	s_wait_dscnt 0x0
	s_barrier_signal -1
	s_barrier_wait -1
	global_inv scope:SCOPE_SE
	ds_load_b128 v[8:11], v82
	ds_load_b128 v[4:7], v82 offset:1200
	ds_load_b128 v[136:139], v82 offset:7680
	;; [unrolled: 1-line block ×14, first 2 shown]
	s_and_saveexec_b32 s1, vcc_lo
	s_cbranch_execz .LBB0_23
; %bb.22:
	ds_load_b128 v[252:255], v82 offset:3600
	ds_load_b128 v[20:23], v82 offset:7440
	;; [unrolled: 1-line block ×5, first 2 shown]
.LBB0_23:
	s_wait_alu 0xfffe
	s_or_b32 exec_lo, exec_lo, s1
	scratch_load_b128 v[71:74], off, off offset:272 th:TH_LOAD_LU ; 16-byte Folded Reload
	s_wait_dscnt 0xc
	v_mul_f64_e32 v[69:70], v[86:87], v[138:139]
	s_mov_b32 s11, 0x3fee6f0e
	s_mov_b32 s10, s14
	;; [unrolled: 1-line block ×5, first 2 shown]
	s_wait_alu 0xfffe
	s_mov_b32 s2, s16
	s_mov_b32 s12, 0x372fe950
	;; [unrolled: 1-line block ×3, first 2 shown]
	s_delay_alu instid0(VALU_DEP_1) | instskip(SKIP_1) | instid1(VALU_DEP_1)
	v_fma_f64 v[232:233], v[84:85], v[136:137], v[69:70]
	v_mul_f64_e32 v[69:70], v[86:87], v[136:137]
	v_fma_f64 v[136:137], v[84:85], v[138:139], -v[69:70]
	s_wait_dscnt 0x4
	v_mul_f64_e32 v[69:70], v[90:91], v[142:143]
	s_delay_alu instid0(VALU_DEP_1) | instskip(SKIP_1) | instid1(VALU_DEP_1)
	v_fma_f64 v[86:87], v[88:89], v[140:141], v[69:70]
	v_mul_f64_e32 v[69:70], v[90:91], v[140:141]
	v_fma_f64 v[84:85], v[88:89], v[142:143], -v[69:70]
	s_wait_loadcnt 0x0
	v_mul_f64_e32 v[69:70], v[73:74], v[62:63]
	s_delay_alu instid0(VALU_DEP_1) | instskip(SKIP_1) | instid1(VALU_DEP_4)
	v_fma_f64 v[138:139], v[71:72], v[60:61], v[69:70]
	v_mul_f64_e32 v[60:61], v[73:74], v[60:61]
	v_add_f64_e64 v[73:74], v[136:137], -v[84:85]
	s_delay_alu instid0(VALU_DEP_2) | instskip(SKIP_1) | instid1(VALU_DEP_1)
	v_fma_f64 v[90:91], v[71:72], v[62:63], -v[60:61]
	v_mul_f64_e32 v[60:61], v[66:67], v[58:59]
	v_fma_f64 v[88:89], v[64:65], v[56:57], v[60:61]
	v_mul_f64_e32 v[56:57], v[66:67], v[56:57]
	s_delay_alu instid0(VALU_DEP_1)
	v_fma_f64 v[80:81], v[64:65], v[58:59], -v[56:57]
	scratch_load_b128 v[58:61], off, off offset:288 th:TH_LOAD_LU ; 16-byte Folded Reload
	global_wb scope:SCOPE_SE
	s_wait_loadcnt_dscnt 0x0
	s_barrier_signal -1
	s_barrier_wait -1
	global_inv scope:SCOPE_SE
	v_mul_f64_e32 v[56:57], v[60:61], v[54:55]
	s_delay_alu instid0(VALU_DEP_1) | instskip(SKIP_1) | instid1(VALU_DEP_1)
	v_fma_f64 v[56:57], v[58:59], v[52:53], v[56:57]
	v_mul_f64_e32 v[52:53], v[60:61], v[52:53]
	v_fma_f64 v[52:53], v[58:59], v[54:55], -v[52:53]
	v_mul_f64_e32 v[54:55], v[94:95], v[46:47]
	s_delay_alu instid0(VALU_DEP_1) | instskip(SKIP_2) | instid1(VALU_DEP_2)
	v_fma_f64 v[60:61], v[92:93], v[44:45], v[54:55]
	v_mul_f64_e32 v[44:45], v[94:95], v[44:45]
	v_add_f64_e64 v[94:95], v[232:233], -v[86:87]
	v_fma_f64 v[62:63], v[92:93], v[46:47], -v[44:45]
	v_mul_f64_e32 v[44:45], v[98:99], v[50:51]
	v_add_f64_e64 v[92:93], v[90:91], -v[80:81]
	s_delay_alu instid0(VALU_DEP_2) | instskip(SKIP_2) | instid1(VALU_DEP_2)
	v_fma_f64 v[58:59], v[96:97], v[48:49], v[44:45]
	v_mul_f64_e32 v[44:45], v[98:99], v[48:49]
	v_add_f64_e64 v[98:99], v[138:139], -v[232:233]
	v_fma_f64 v[54:55], v[96:97], v[50:51], -v[44:45]
	v_mul_f64_e32 v[44:45], v[102:103], v[36:37]
	v_add_f64_e64 v[96:97], v[138:139], -v[88:89]
	s_delay_alu instid0(VALU_DEP_2) | instskip(SKIP_1) | instid1(VALU_DEP_1)
	v_fma_f64 v[64:65], v[100:101], v[38:39], -v[44:45]
	v_mul_f64_e32 v[38:39], v[102:103], v[38:39]
	v_fma_f64 v[66:67], v[100:101], v[36:37], v[38:39]
	v_mul_f64_e32 v[36:37], v[106:107], v[42:43]
	s_delay_alu instid0(VALU_DEP_1) | instskip(SKIP_2) | instid1(VALU_DEP_2)
	v_fma_f64 v[38:39], v[104:105], v[40:41], v[36:37]
	v_mul_f64_e32 v[36:37], v[106:107], v[40:41]
	v_mul_f64_e32 v[40:41], v[110:111], v[34:35]
	v_fma_f64 v[36:37], v[104:105], v[42:43], -v[36:37]
	s_delay_alu instid0(VALU_DEP_2) | instskip(SKIP_1) | instid1(VALU_DEP_1)
	v_fma_f64 v[44:45], v[108:109], v[32:33], v[40:41]
	v_mul_f64_e32 v[32:33], v[110:111], v[32:33]
	v_fma_f64 v[46:47], v[108:109], v[34:35], -v[32:33]
	v_mul_f64_e32 v[32:33], v[114:115], v[18:19]
	s_delay_alu instid0(VALU_DEP_1) | instskip(SKIP_1) | instid1(VALU_DEP_1)
	v_fma_f64 v[42:43], v[112:113], v[16:17], v[32:33]
	v_mul_f64_e32 v[16:17], v[114:115], v[16:17]
	v_fma_f64 v[40:41], v[112:113], v[18:19], -v[16:17]
	v_mul_f64_e32 v[16:17], v[118:119], v[14:15]
	s_delay_alu instid0(VALU_DEP_1) | instskip(SKIP_1) | instid1(VALU_DEP_1)
	v_fma_f64 v[48:49], v[116:117], v[12:13], v[16:17]
	v_mul_f64_e32 v[12:13], v[118:119], v[12:13]
	v_fma_f64 v[50:51], v[116:117], v[14:15], -v[12:13]
	v_mul_f64_e32 v[12:13], v[126:127], v[22:23]
	s_delay_alu instid0(VALU_DEP_1) | instskip(SKIP_2) | instid1(VALU_DEP_2)
	v_fma_f64 v[32:33], v[124:125], v[20:21], v[12:13]
	v_mul_f64_e32 v[12:13], v[126:127], v[20:21]
	v_mul_f64_e32 v[20:21], v[122:123], v[24:25]
	v_fma_f64 v[34:35], v[124:125], v[22:23], -v[12:13]
	v_mul_f64_e32 v[12:13], v[130:131], v[250:251]
	s_delay_alu instid0(VALU_DEP_3) | instskip(NEXT) | instid1(VALU_DEP_2)
	v_fma_f64 v[20:21], v[120:121], v[26:27], -v[20:21]
	v_fma_f64 v[18:19], v[128:129], v[248:249], v[12:13]
	v_mul_f64_e32 v[12:13], v[130:131], v[248:249]
	s_delay_alu instid0(VALU_DEP_1) | instskip(SKIP_1) | instid1(VALU_DEP_1)
	v_fma_f64 v[22:23], v[128:129], v[250:251], -v[12:13]
	v_mul_f64_e32 v[12:13], v[134:135], v[30:31]
	v_fma_f64 v[14:15], v[132:133], v[28:29], v[12:13]
	v_mul_f64_e32 v[12:13], v[134:135], v[28:29]
	s_delay_alu instid0(VALU_DEP_1) | instskip(SKIP_2) | instid1(VALU_DEP_2)
	v_fma_f64 v[16:17], v[132:133], v[30:31], -v[12:13]
	v_mul_f64_e32 v[12:13], v[122:123], v[26:27]
	v_add_f64_e64 v[26:27], v[86:87], -v[88:89]
	v_fma_f64 v[12:13], v[120:121], v[24:25], v[12:13]
	v_add_f64_e64 v[24:25], v[232:233], -v[138:139]
	s_delay_alu instid0(VALU_DEP_1) | instskip(SKIP_2) | instid1(VALU_DEP_1)
	v_add_f64_e32 v[28:29], v[24:25], v[26:27]
	v_add_f64_e64 v[24:25], v[136:137], -v[90:91]
	v_add_f64_e64 v[26:27], v[84:85], -v[80:81]
	v_add_f64_e32 v[30:31], v[24:25], v[26:27]
	v_add_f64_e32 v[24:25], v[138:139], v[88:89]
	s_delay_alu instid0(VALU_DEP_1) | instskip(SKIP_1) | instid1(VALU_DEP_1)
	v_fma_f64 v[69:70], v[24:25], -0.5, v[8:9]
	v_add_f64_e32 v[24:25], v[90:91], v[80:81]
	v_fma_f64 v[71:72], v[24:25], -0.5, v[10:11]
	s_delay_alu instid0(VALU_DEP_3) | instskip(SKIP_1) | instid1(VALU_DEP_3)
	v_fma_f64 v[24:25], v[73:74], s[10:11], v[69:70]
	v_fma_f64 v[69:70], v[73:74], s[14:15], v[69:70]
	;; [unrolled: 1-line block ×4, first 2 shown]
	s_delay_alu instid0(VALU_DEP_4) | instskip(SKIP_1) | instid1(VALU_DEP_4)
	v_fma_f64 v[24:25], v[92:93], s[16:17], v[24:25]
	s_wait_alu 0xfffe
	v_fma_f64 v[69:70], v[92:93], s[2:3], v[69:70]
	s_delay_alu instid0(VALU_DEP_4) | instskip(NEXT) | instid1(VALU_DEP_4)
	v_fma_f64 v[26:27], v[96:97], s[2:3], v[26:27]
	v_fma_f64 v[71:72], v[96:97], s[16:17], v[71:72]
	s_delay_alu instid0(VALU_DEP_4) | instskip(NEXT) | instid1(VALU_DEP_4)
	v_fma_f64 v[24:25], v[28:29], s[12:13], v[24:25]
	v_fma_f64 v[28:29], v[28:29], s[12:13], v[69:70]
	v_add_f64_e32 v[69:70], v[232:233], v[86:87]
	v_fma_f64 v[26:27], v[30:31], s[12:13], v[26:27]
	v_fma_f64 v[30:31], v[30:31], s[12:13], v[71:72]
	v_add_f64_e32 v[71:72], v[136:137], v[84:85]
	s_delay_alu instid0(VALU_DEP_4) | instskip(SKIP_1) | instid1(VALU_DEP_3)
	v_fma_f64 v[69:70], v[69:70], -0.5, v[8:9]
	v_add_f64_e32 v[8:9], v[8:9], v[138:139]
	v_fma_f64 v[71:72], v[71:72], -0.5, v[10:11]
	v_add_f64_e32 v[10:11], v[10:11], v[90:91]
	v_add_f64_e64 v[90:91], v[90:91], -v[136:137]
	s_delay_alu instid0(VALU_DEP_4) | instskip(NEXT) | instid1(VALU_DEP_3)
	v_add_f64_e32 v[8:9], v[8:9], v[232:233]
	v_add_f64_e32 v[10:11], v[10:11], v[136:137]
	s_delay_alu instid0(VALU_DEP_2) | instskip(SKIP_1) | instid1(VALU_DEP_3)
	v_add_f64_e32 v[8:9], v[8:9], v[86:87]
	v_add_f64_e64 v[86:87], v[88:89], -v[86:87]
	v_add_f64_e32 v[10:11], v[10:11], v[84:85]
	s_delay_alu instid0(VALU_DEP_3) | instskip(SKIP_2) | instid1(VALU_DEP_4)
	v_add_f64_e32 v[8:9], v[8:9], v[88:89]
	v_fma_f64 v[88:89], v[96:97], s[10:11], v[71:72]
	v_fma_f64 v[71:72], v[96:97], s[14:15], v[71:72]
	v_add_f64_e32 v[10:11], v[10:11], v[80:81]
	v_add_f64_e64 v[80:81], v[80:81], -v[84:85]
	v_fma_f64 v[84:85], v[92:93], s[14:15], v[69:70]
	v_fma_f64 v[69:70], v[92:93], s[10:11], v[69:70]
	v_add_f64_e32 v[92:93], v[98:99], v[86:87]
	v_fma_f64 v[71:72], v[94:95], s[16:17], v[71:72]
	v_add_f64_e32 v[80:81], v[90:91], v[80:81]
	v_fma_f64 v[84:85], v[73:74], s[16:17], v[84:85]
	v_fma_f64 v[69:70], v[73:74], s[2:3], v[69:70]
	v_fma_f64 v[73:74], v[94:95], s[2:3], v[88:89]
	s_delay_alu instid0(VALU_DEP_4) | instskip(NEXT) | instid1(VALU_DEP_4)
	v_fma_f64 v[90:91], v[80:81], s[12:13], v[71:72]
	v_fma_f64 v[84:85], v[92:93], s[12:13], v[84:85]
	s_delay_alu instid0(VALU_DEP_4)
	v_fma_f64 v[88:89], v[92:93], s[12:13], v[69:70]
	scratch_load_b32 v69, off, off offset:348 th:TH_LOAD_LU ; 4-byte Folded Reload
	v_fma_f64 v[86:87], v[80:81], s[12:13], v[73:74]
	v_add_f64_e64 v[73:74], v[60:61], -v[58:59]
	v_add_f64_e64 v[71:72], v[52:53], -v[64:65]
	;; [unrolled: 1-line block ×3, first 2 shown]
	s_wait_loadcnt 0x0
	ds_store_b128 v69, v[8:11]
	ds_store_b128 v69, v[84:87] offset:80
	ds_store_b128 v69, v[24:27] offset:160
	;; [unrolled: 1-line block ×4, first 2 shown]
	v_add_f64_e64 v[8:9], v[60:61], -v[56:57]
	v_add_f64_e64 v[10:11], v[58:59], -v[66:67]
	;; [unrolled: 1-line block ×3, first 2 shown]
	s_delay_alu instid0(VALU_DEP_2) | instskip(SKIP_2) | instid1(VALU_DEP_1)
	v_add_f64_e32 v[24:25], v[8:9], v[10:11]
	v_add_f64_e64 v[8:9], v[62:63], -v[52:53]
	v_add_f64_e64 v[10:11], v[54:55], -v[64:65]
	v_add_f64_e32 v[26:27], v[8:9], v[10:11]
	v_add_f64_e32 v[8:9], v[56:57], v[66:67]
	s_delay_alu instid0(VALU_DEP_1) | instskip(SKIP_1) | instid1(VALU_DEP_1)
	v_fma_f64 v[28:29], v[8:9], -0.5, v[4:5]
	v_add_f64_e32 v[8:9], v[52:53], v[64:65]
	v_fma_f64 v[30:31], v[8:9], -0.5, v[6:7]
	s_delay_alu instid0(VALU_DEP_3) | instskip(SKIP_1) | instid1(VALU_DEP_3)
	v_fma_f64 v[8:9], v[69:70], s[10:11], v[28:29]
	v_fma_f64 v[28:29], v[69:70], s[14:15], v[28:29]
	;; [unrolled: 1-line block ×4, first 2 shown]
	s_delay_alu instid0(VALU_DEP_4) | instskip(NEXT) | instid1(VALU_DEP_4)
	v_fma_f64 v[8:9], v[71:72], s[16:17], v[8:9]
	v_fma_f64 v[28:29], v[71:72], s[2:3], v[28:29]
	s_delay_alu instid0(VALU_DEP_4) | instskip(NEXT) | instid1(VALU_DEP_4)
	v_fma_f64 v[10:11], v[80:81], s[2:3], v[10:11]
	v_fma_f64 v[30:31], v[80:81], s[16:17], v[30:31]
	;; [unrolled: 3-line block ×3, first 2 shown]
	v_add_f64_e32 v[28:29], v[60:61], v[58:59]
	v_fma_f64 v[10:11], v[26:27], s[12:13], v[10:11]
	v_fma_f64 v[26:27], v[26:27], s[12:13], v[30:31]
	v_add_f64_e32 v[30:31], v[62:63], v[54:55]
	s_delay_alu instid0(VALU_DEP_4) | instskip(SKIP_2) | instid1(VALU_DEP_4)
	v_fma_f64 v[28:29], v[28:29], -0.5, v[4:5]
	v_add_f64_e32 v[4:5], v[4:5], v[56:57]
	v_add_f64_e64 v[56:57], v[56:57], -v[60:61]
	v_fma_f64 v[30:31], v[30:31], -0.5, v[6:7]
	v_add_f64_e32 v[6:7], v[6:7], v[52:53]
	v_add_f64_e64 v[52:53], v[52:53], -v[62:63]
	v_add_f64_e32 v[4:5], v[4:5], v[60:61]
	v_fma_f64 v[60:61], v[71:72], s[14:15], v[28:29]
	v_fma_f64 v[28:29], v[71:72], s[10:11], v[28:29]
	v_add_f64_e32 v[6:7], v[6:7], v[62:63]
	v_fma_f64 v[62:63], v[80:81], s[10:11], v[30:31]
	v_add_f64_e32 v[4:5], v[4:5], v[58:59]
	v_add_f64_e64 v[58:59], v[66:67], -v[58:59]
	v_fma_f64 v[30:31], v[80:81], s[14:15], v[30:31]
	v_add_f64_e32 v[6:7], v[6:7], v[54:55]
	v_add_f64_e64 v[54:55], v[64:65], -v[54:55]
	v_add_f64_e32 v[4:5], v[4:5], v[66:67]
	v_add_f64_e32 v[56:57], v[56:57], v[58:59]
	v_fma_f64 v[58:59], v[69:70], s[2:3], v[28:29]
	v_add_f64_e32 v[6:7], v[6:7], v[64:65]
	v_add_f64_e32 v[54:55], v[52:53], v[54:55]
	v_fma_f64 v[52:53], v[69:70], s[16:17], v[60:61]
	v_fma_f64 v[60:61], v[73:74], s[2:3], v[62:63]
	;; [unrolled: 1-line block ×3, first 2 shown]
	s_delay_alu instid0(VALU_DEP_3)
	v_fma_f64 v[28:29], v[56:57], s[12:13], v[52:53]
	v_fma_f64 v[52:53], v[56:57], s[12:13], v[58:59]
	scratch_load_b32 v56, off, off offset:344 th:TH_LOAD_LU ; 4-byte Folded Reload
	v_fma_f64 v[30:31], v[54:55], s[12:13], v[60:61]
	v_fma_f64 v[54:55], v[54:55], s[12:13], v[62:63]
	s_wait_loadcnt 0x0
	ds_store_b128 v56, v[4:7]
	ds_store_b128 v56, v[28:31] offset:80
	ds_store_b128 v56, v[8:11] offset:160
	;; [unrolled: 1-line block ×4, first 2 shown]
	v_add_f64_e64 v[4:5], v[44:45], -v[38:39]
	v_add_f64_e64 v[6:7], v[42:43], -v[48:49]
	;; [unrolled: 1-line block ×6, first 2 shown]
	v_add_f64_e32 v[8:9], v[4:5], v[6:7]
	v_add_f64_e64 v[4:5], v[46:47], -v[36:37]
	v_add_f64_e64 v[6:7], v[40:41], -v[50:51]
	s_delay_alu instid0(VALU_DEP_1) | instskip(SKIP_1) | instid1(VALU_DEP_1)
	v_add_f64_e32 v[10:11], v[4:5], v[6:7]
	v_add_f64_e32 v[4:5], v[38:39], v[48:49]
	v_fma_f64 v[24:25], v[4:5], -0.5, v[0:1]
	v_add_f64_e32 v[4:5], v[36:37], v[50:51]
	s_delay_alu instid0(VALU_DEP_1) | instskip(NEXT) | instid1(VALU_DEP_3)
	v_fma_f64 v[26:27], v[4:5], -0.5, v[2:3]
	v_fma_f64 v[4:5], v[28:29], s[10:11], v[24:25]
	v_fma_f64 v[24:25], v[28:29], s[14:15], v[24:25]
	s_delay_alu instid0(VALU_DEP_3) | instskip(SKIP_1) | instid1(VALU_DEP_4)
	v_fma_f64 v[6:7], v[52:53], s[14:15], v[26:27]
	v_fma_f64 v[26:27], v[52:53], s[10:11], v[26:27]
	;; [unrolled: 1-line block ×3, first 2 shown]
	s_delay_alu instid0(VALU_DEP_4) | instskip(NEXT) | instid1(VALU_DEP_4)
	v_fma_f64 v[24:25], v[30:31], s[2:3], v[24:25]
	v_fma_f64 v[6:7], v[54:55], s[2:3], v[6:7]
	s_delay_alu instid0(VALU_DEP_4) | instskip(NEXT) | instid1(VALU_DEP_4)
	v_fma_f64 v[26:27], v[54:55], s[16:17], v[26:27]
	v_fma_f64 v[4:5], v[8:9], s[12:13], v[4:5]
	s_delay_alu instid0(VALU_DEP_4) | instskip(SKIP_4) | instid1(VALU_DEP_4)
	v_fma_f64 v[8:9], v[8:9], s[12:13], v[24:25]
	v_add_f64_e32 v[24:25], v[44:45], v[42:43]
	v_fma_f64 v[6:7], v[10:11], s[12:13], v[6:7]
	v_fma_f64 v[10:11], v[10:11], s[12:13], v[26:27]
	v_add_f64_e32 v[26:27], v[46:47], v[40:41]
	v_fma_f64 v[24:25], v[24:25], -0.5, v[0:1]
	v_add_f64_e32 v[0:1], v[0:1], v[38:39]
	v_add_f64_e64 v[38:39], v[38:39], -v[44:45]
	s_delay_alu instid0(VALU_DEP_4)
	v_fma_f64 v[26:27], v[26:27], -0.5, v[2:3]
	v_add_f64_e32 v[2:3], v[2:3], v[36:37]
	v_add_f64_e64 v[36:37], v[36:37], -v[46:47]
	v_add_f64_e32 v[0:1], v[0:1], v[44:45]
	v_fma_f64 v[44:45], v[30:31], s[14:15], v[24:25]
	v_fma_f64 v[24:25], v[30:31], s[10:11], v[24:25]
	;; [unrolled: 1-line block ×3, first 2 shown]
	v_add_f64_e32 v[2:3], v[2:3], v[46:47]
	v_fma_f64 v[26:27], v[54:55], s[14:15], v[26:27]
	v_add_f64_e32 v[0:1], v[0:1], v[42:43]
	v_add_f64_e64 v[42:43], v[48:49], -v[42:43]
	v_fma_f64 v[30:31], v[52:53], s[2:3], v[30:31]
	v_add_f64_e32 v[2:3], v[2:3], v[40:41]
	v_add_f64_e64 v[40:41], v[50:51], -v[40:41]
	v_add_f64_e32 v[0:1], v[0:1], v[48:49]
	v_add_f64_e32 v[38:39], v[38:39], v[42:43]
	v_fma_f64 v[42:43], v[52:53], s[16:17], v[26:27]
	v_add_f64_e32 v[2:3], v[2:3], v[50:51]
	v_add_f64_e32 v[36:37], v[36:37], v[40:41]
	v_fma_f64 v[40:41], v[28:29], s[16:17], v[44:45]
	v_fma_f64 v[28:29], v[28:29], s[2:3], v[24:25]
	s_delay_alu instid0(VALU_DEP_3)
	v_fma_f64 v[26:27], v[36:37], s[12:13], v[30:31]
	v_fma_f64 v[30:31], v[36:37], s[12:13], v[42:43]
	scratch_load_b32 v36, off, off offset:340 th:TH_LOAD_LU ; 4-byte Folded Reload
	v_fma_f64 v[24:25], v[38:39], s[12:13], v[40:41]
	v_fma_f64 v[28:29], v[38:39], s[12:13], v[28:29]
	s_wait_loadcnt 0x0
	ds_store_b128 v36, v[0:3]
	ds_store_b128 v36, v[24:27] offset:80
	v_add_f64_e64 v[0:1], v[32:33], -v[18:19]
	v_add_f64_e64 v[2:3], v[12:13], -v[14:15]
	ds_store_b128 v36, v[4:7] offset:160
	ds_store_b128 v36, v[8:11] offset:240
	v_add_f64_e64 v[4:5], v[18:19], -v[32:33]
	v_add_f64_e64 v[6:7], v[14:15], -v[12:13]
	v_add_f64_e64 v[8:9], v[34:35], -v[22:23]
	v_add_f64_e64 v[10:11], v[20:21], -v[16:17]
	v_add_f64_e32 v[26:27], v[18:19], v[14:15]
	ds_store_b128 v36, v[28:31] offset:320
	v_add_f64_e32 v[28:29], v[22:23], v[16:17]
	v_add_f64_e64 v[24:25], v[34:35], -v[20:21]
	v_add_f64_e64 v[30:31], v[22:23], -v[34:35]
	;; [unrolled: 1-line block ×3, first 2 shown]
	v_add_f64_e32 v[0:1], v[0:1], v[2:3]
	v_add_f64_e32 v[2:3], v[4:5], v[6:7]
	v_add_f64_e64 v[6:7], v[16:17], -v[20:21]
	v_add_f64_e32 v[4:5], v[8:9], v[10:11]
	v_fma_f64 v[8:9], v[26:27], -0.5, v[252:253]
	v_add_f64_e64 v[26:27], v[22:23], -v[16:17]
	v_fma_f64 v[10:11], v[28:29], -0.5, v[254:255]
	v_add_f64_e32 v[6:7], v[30:31], v[6:7]
	s_delay_alu instid0(VALU_DEP_4) | instskip(NEXT) | instid1(VALU_DEP_1)
	v_fma_f64 v[28:29], v[24:25], s[14:15], v[8:9]
	v_fma_f64 v[30:31], v[26:27], s[16:17], v[28:29]
	v_add_f64_e64 v[28:29], v[32:33], -v[12:13]
	s_delay_alu instid0(VALU_DEP_2) | instskip(NEXT) | instid1(VALU_DEP_2)
	v_fma_f64 v[60:61], v[0:1], s[12:13], v[30:31]
	v_fma_f64 v[38:39], v[28:29], s[10:11], v[10:11]
	v_add_f64_e32 v[30:31], v[32:33], v[12:13]
	s_delay_alu instid0(VALU_DEP_2) | instskip(NEXT) | instid1(VALU_DEP_2)
	v_fma_f64 v[38:39], v[36:37], s[2:3], v[38:39]
	v_fma_f64 v[30:31], v[30:31], -0.5, v[252:253]
	s_delay_alu instid0(VALU_DEP_2) | instskip(SKIP_1) | instid1(VALU_DEP_3)
	v_fma_f64 v[62:63], v[4:5], s[12:13], v[38:39]
	v_add_f64_e32 v[38:39], v[34:35], v[20:21]
	v_fma_f64 v[40:41], v[26:27], s[10:11], v[30:31]
	s_delay_alu instid0(VALU_DEP_2) | instskip(NEXT) | instid1(VALU_DEP_2)
	v_fma_f64 v[38:39], v[38:39], -0.5, v[254:255]
	v_fma_f64 v[40:41], v[24:25], s[16:17], v[40:41]
	s_delay_alu instid0(VALU_DEP_2) | instskip(NEXT) | instid1(VALU_DEP_2)
	v_fma_f64 v[42:43], v[36:37], s[14:15], v[38:39]
	v_fma_f64 v[64:65], v[2:3], s[12:13], v[40:41]
	s_delay_alu instid0(VALU_DEP_2) | instskip(NEXT) | instid1(VALU_DEP_1)
	v_fma_f64 v[42:43], v[28:29], s[2:3], v[42:43]
	v_fma_f64 v[66:67], v[6:7], s[12:13], v[42:43]
	s_and_saveexec_b32 s1, vcc_lo
	s_cbranch_execz .LBB0_25
; %bb.24:
	v_add_f64_e32 v[34:35], v[254:255], v[34:35]
	v_add_f64_e32 v[32:33], v[252:253], v[32:33]
	v_mul_f64_e32 v[40:41], s[10:11], v[36:37]
	v_mul_f64_e32 v[42:43], s[10:11], v[28:29]
	;; [unrolled: 1-line block ×10, first 2 shown]
	v_add_f64_e32 v[22:23], v[34:35], v[22:23]
	v_add_f64_e32 v[18:19], v[32:33], v[18:19]
	v_mul_f64_e32 v[34:35], s[12:13], v[0:1]
	v_add_f64_e32 v[32:33], v[40:41], v[38:39]
	v_mul_f64_e32 v[38:39], s[12:13], v[2:3]
	v_add_f64_e64 v[10:11], v[10:11], -v[42:43]
	v_add_f64_e64 v[30:31], v[30:31], -v[44:45]
	v_add_f64_e32 v[8:9], v[8:9], v[46:47]
	v_add_f64_e32 v[0:1], v[22:23], v[16:17]
	;; [unrolled: 1-line block ×3, first 2 shown]
	v_add_f64_e64 v[16:17], v[32:33], -v[28:29]
	v_add_f64_e64 v[10:11], v[10:11], -v[36:37]
	v_add_f64_e32 v[18:19], v[24:25], v[30:31]
	v_add_f64_e32 v[8:9], v[26:27], v[8:9]
	;; [unrolled: 1-line block ×4, first 2 shown]
	s_clause 0x1
	scratch_load_b32 v12, off, off offset:336 th:TH_LOAD_LU
	scratch_load_b32 v13, off, off offset:12 th:TH_LOAD_LU
	v_add_f64_e32 v[6:7], v[6:7], v[16:17]
	v_add_f64_e32 v[10:11], v[4:5], v[10:11]
	;; [unrolled: 1-line block ×4, first 2 shown]
	s_wait_loadcnt 0x1
	v_and_b32_e32 v12, 0xffff, v12
	s_wait_loadcnt 0x0
	s_delay_alu instid0(VALU_DEP_1)
	v_lshl_add_u32 v12, v12, 4, v13
	ds_store_b128 v12, v[0:3]
	ds_store_b128 v12, v[60:63] offset:80
	ds_store_b128 v12, v[64:67] offset:160
	;; [unrolled: 1-line block ×4, first 2 shown]
.LBB0_25:
	s_wait_alu 0xfffe
	s_or_b32 exec_lo, exec_lo, s1
	global_wb scope:SCOPE_SE
	s_wait_dscnt 0x0
	s_barrier_signal -1
	s_barrier_wait -1
	global_inv scope:SCOPE_SE
	s_clause 0x1
	scratch_load_b128 v[10:13], off, off offset:320 th:TH_LOAD_LU
	scratch_load_b128 v[14:17], off, off offset:304 th:TH_LOAD_LU
	ds_load_b128 v[0:3], v82 offset:1200
	s_mov_b32 s2, 0x667f3bcd
	s_mov_b32 s3, 0xbfe6a09e
	s_mov_b32 s11, 0x3fe6a09e
	s_wait_alu 0xfffe
	s_mov_b32 s10, s2
	s_mov_b32 s12, 0xcf328d46
	s_mov_b32 s13, 0xbfed906b
	s_mov_b32 s19, 0x3fed906b
	s_wait_alu 0xfffe
	s_mov_b32 s18, s12
	;; [unrolled: 5-line block ×3, first 2 shown]
	s_wait_dscnt 0x0
	v_mul_f64_e32 v[4:5], v[78:79], v[2:3]
	s_delay_alu instid0(VALU_DEP_1) | instskip(SKIP_1) | instid1(VALU_DEP_1)
	v_fma_f64 v[4:5], v[76:77], v[0:1], v[4:5]
	v_mul_f64_e32 v[0:1], v[78:79], v[0:1]
	v_fma_f64 v[6:7], v[76:77], v[2:3], -v[0:1]
	ds_load_b128 v[0:3], v82 offset:2400
	s_wait_loadcnt_dscnt 0x100
	v_mul_f64_e32 v[8:9], v[12:13], v[2:3]
	s_delay_alu instid0(VALU_DEP_1) | instskip(SKIP_1) | instid1(VALU_DEP_1)
	v_fma_f64 v[8:9], v[10:11], v[0:1], v[8:9]
	v_mul_f64_e32 v[0:1], v[12:13], v[0:1]
	v_fma_f64 v[10:11], v[10:11], v[2:3], -v[0:1]
	ds_load_b128 v[0:3], v82 offset:3600
	s_wait_loadcnt_dscnt 0x0
	v_mul_f64_e32 v[12:13], v[16:17], v[2:3]
	s_delay_alu instid0(VALU_DEP_1) | instskip(SKIP_1) | instid1(VALU_DEP_1)
	v_fma_f64 v[12:13], v[14:15], v[0:1], v[12:13]
	v_mul_f64_e32 v[0:1], v[16:17], v[0:1]
	v_fma_f64 v[14:15], v[14:15], v[2:3], -v[0:1]
	ds_load_b128 v[0:3], v82 offset:4800
	s_wait_dscnt 0x0
	v_mul_f64_e32 v[16:17], v[146:147], v[2:3]
	s_delay_alu instid0(VALU_DEP_1) | instskip(SKIP_1) | instid1(VALU_DEP_1)
	v_fma_f64 v[16:17], v[144:145], v[0:1], v[16:17]
	v_mul_f64_e32 v[0:1], v[146:147], v[0:1]
	v_fma_f64 v[18:19], v[144:145], v[2:3], -v[0:1]
	ds_load_b128 v[0:3], v82 offset:6000
	s_wait_dscnt 0x0
	v_mul_f64_e32 v[20:21], v[150:151], v[2:3]
	s_delay_alu instid0(VALU_DEP_1) | instskip(SKIP_1) | instid1(VALU_DEP_1)
	v_fma_f64 v[20:21], v[148:149], v[0:1], v[20:21]
	v_mul_f64_e32 v[0:1], v[150:151], v[0:1]
	v_fma_f64 v[22:23], v[148:149], v[2:3], -v[0:1]
	ds_load_b128 v[0:3], v82 offset:7200
	s_wait_dscnt 0x0
	v_mul_f64_e32 v[24:25], v[154:155], v[2:3]
	s_delay_alu instid0(VALU_DEP_1) | instskip(SKIP_1) | instid1(VALU_DEP_1)
	v_fma_f64 v[24:25], v[152:153], v[0:1], v[24:25]
	v_mul_f64_e32 v[0:1], v[154:155], v[0:1]
	v_fma_f64 v[26:27], v[152:153], v[2:3], -v[0:1]
	ds_load_b128 v[0:3], v82 offset:8400
	s_wait_dscnt 0x0
	v_mul_f64_e32 v[28:29], v[158:159], v[2:3]
	s_delay_alu instid0(VALU_DEP_1) | instskip(SKIP_1) | instid1(VALU_DEP_1)
	v_fma_f64 v[28:29], v[156:157], v[0:1], v[28:29]
	v_mul_f64_e32 v[0:1], v[158:159], v[0:1]
	v_fma_f64 v[30:31], v[156:157], v[2:3], -v[0:1]
	ds_load_b128 v[0:3], v82 offset:9600
	s_wait_dscnt 0x0
	v_mul_f64_e32 v[32:33], v[162:163], v[2:3]
	s_delay_alu instid0(VALU_DEP_1) | instskip(SKIP_1) | instid1(VALU_DEP_1)
	v_fma_f64 v[32:33], v[160:161], v[0:1], v[32:33]
	v_mul_f64_e32 v[0:1], v[162:163], v[0:1]
	v_fma_f64 v[34:35], v[160:161], v[2:3], -v[0:1]
	ds_load_b128 v[0:3], v82 offset:14400
	s_wait_dscnt 0x0
	v_mul_f64_e32 v[36:37], v[166:167], v[2:3]
	s_delay_alu instid0(VALU_DEP_1) | instskip(SKIP_1) | instid1(VALU_DEP_1)
	v_fma_f64 v[36:37], v[164:165], v[0:1], v[36:37]
	v_mul_f64_e32 v[0:1], v[166:167], v[0:1]
	v_fma_f64 v[38:39], v[164:165], v[2:3], -v[0:1]
	ds_load_b128 v[0:3], v82 offset:12000
	s_wait_dscnt 0x0
	v_mul_f64_e32 v[40:41], v[170:171], v[2:3]
	s_delay_alu instid0(VALU_DEP_1) | instskip(SKIP_1) | instid1(VALU_DEP_1)
	v_fma_f64 v[40:41], v[168:169], v[0:1], v[40:41]
	v_mul_f64_e32 v[0:1], v[170:171], v[0:1]
	v_fma_f64 v[42:43], v[168:169], v[2:3], -v[0:1]
	ds_load_b128 v[0:3], v82 offset:16800
	s_wait_dscnt 0x0
	v_mul_f64_e32 v[44:45], v[174:175], v[2:3]
	s_delay_alu instid0(VALU_DEP_1) | instskip(SKIP_1) | instid1(VALU_DEP_1)
	v_fma_f64 v[44:45], v[172:173], v[0:1], v[44:45]
	v_mul_f64_e32 v[0:1], v[174:175], v[0:1]
	v_fma_f64 v[46:47], v[172:173], v[2:3], -v[0:1]
	ds_load_b128 v[0:3], v82 offset:10800
	s_wait_dscnt 0x0
	v_mul_f64_e32 v[48:49], v[178:179], v[2:3]
	s_delay_alu instid0(VALU_DEP_1) | instskip(SKIP_1) | instid1(VALU_DEP_1)
	v_fma_f64 v[48:49], v[176:177], v[0:1], v[48:49]
	v_mul_f64_e32 v[0:1], v[178:179], v[0:1]
	v_fma_f64 v[50:51], v[176:177], v[2:3], -v[0:1]
	ds_load_b128 v[0:3], v82 offset:15600
	s_wait_dscnt 0x0
	v_mul_f64_e32 v[52:53], v[182:183], v[2:3]
	s_delay_alu instid0(VALU_DEP_1) | instskip(SKIP_1) | instid1(VALU_DEP_1)
	v_fma_f64 v[52:53], v[180:181], v[0:1], v[52:53]
	v_mul_f64_e32 v[0:1], v[182:183], v[0:1]
	v_fma_f64 v[54:55], v[180:181], v[2:3], -v[0:1]
	ds_load_b128 v[0:3], v82 offset:13200
	s_wait_dscnt 0x0
	v_mul_f64_e32 v[56:57], v[186:187], v[2:3]
	s_delay_alu instid0(VALU_DEP_1) | instskip(SKIP_1) | instid1(VALU_DEP_1)
	v_fma_f64 v[56:57], v[184:185], v[0:1], v[56:57]
	v_mul_f64_e32 v[0:1], v[186:187], v[0:1]
	v_fma_f64 v[58:59], v[184:185], v[2:3], -v[0:1]
	ds_load_b128 v[0:3], v82 offset:18000
	s_wait_dscnt 0x0
	v_mul_f64_e32 v[69:70], v[190:191], v[0:1]
	s_delay_alu instid0(VALU_DEP_1) | instskip(SKIP_1) | instid1(VALU_DEP_1)
	v_fma_f64 v[69:70], v[188:189], v[2:3], -v[69:70]
	v_mul_f64_e32 v[2:3], v[190:191], v[2:3]
	v_fma_f64 v[71:72], v[188:189], v[0:1], v[2:3]
	ds_load_b128 v[0:3], v82
	global_wb scope:SCOPE_SE
	s_wait_dscnt 0x0
	s_barrier_signal -1
	s_barrier_wait -1
	global_inv scope:SCOPE_SE
	v_add_f64_e64 v[32:33], v[0:1], -v[32:33]
	v_add_f64_e64 v[34:35], v[2:3], -v[34:35]
	s_delay_alu instid0(VALU_DEP_2) | instskip(NEXT) | instid1(VALU_DEP_2)
	v_fma_f64 v[73:74], v[0:1], 2.0, -v[32:33]
	v_fma_f64 v[75:76], v[2:3], 2.0, -v[34:35]
	v_add_f64_e64 v[0:1], v[16:17], -v[36:37]
	v_add_f64_e64 v[2:3], v[18:19], -v[38:39]
	;; [unrolled: 1-line block ×14, first 2 shown]
	v_fma_f64 v[16:17], v[16:17], 2.0, -v[0:1]
	v_fma_f64 v[18:19], v[18:19], 2.0, -v[2:3]
	;; [unrolled: 1-line block ×14, first 2 shown]
	v_add_f64_e32 v[96:97], v[32:33], v[2:3]
	v_add_f64_e32 v[42:43], v[36:37], v[42:43]
	v_add_f64_e64 v[98:99], v[34:35], -v[0:1]
	v_add_f64_e64 v[40:41], v[38:39], -v[40:41]
	v_add_f64_e32 v[50:51], v[44:45], v[50:51]
	v_add_f64_e32 v[56:57], v[52:53], v[56:57]
	v_add_f64_e64 v[48:49], v[46:47], -v[48:49]
	v_add_f64_e64 v[58:59], v[54:55], -v[58:59]
	v_add_f64_e64 v[28:29], v[73:74], -v[16:17]
	v_add_f64_e64 v[30:31], v[75:76], -v[18:19]
	v_add_f64_e64 v[77:78], v[69:70], -v[8:9]
	v_add_f64_e64 v[79:80], v[71:72], -v[10:11]
	v_add_f64_e64 v[84:85], v[24:25], -v[4:5]
	v_add_f64_e64 v[86:87], v[26:27], -v[6:7]
	v_add_f64_e64 v[88:89], v[22:23], -v[12:13]
	v_add_f64_e64 v[90:91], v[20:21], -v[14:15]
	v_fma_f64 v[0:1], v[42:43], s[10:11], v[96:97]
	v_add_f64_e64 v[18:19], v[30:31], -v[77:78]
	v_add_f64_e32 v[16:17], v[28:29], v[79:80]
	v_add_f64_e32 v[8:9], v[84:85], v[88:89]
	v_add_f64_e64 v[10:11], v[86:87], -v[90:91]
	v_fma_f64 v[22:23], v[22:23], 2.0, -v[88:89]
	v_fma_f64 v[20:21], v[20:21], 2.0, -v[90:91]
	v_fma_f64 v[100:101], v[40:41], s[10:11], v[0:1]
	v_fma_f64 v[0:1], v[40:41], s[10:11], v[98:99]
	v_fma_f64 v[94:95], v[30:31], 2.0, -v[18:19]
	v_fma_f64 v[92:93], v[28:29], 2.0, -v[16:17]
	;; [unrolled: 1-line block ×4, first 2 shown]
	v_fma_f64 v[4:5], v[8:9], s[10:11], v[16:17]
	v_fma_f64 v[6:7], v[10:11], s[10:11], v[18:19]
	v_fma_f64 v[12:13], v[84:85], 2.0, -v[8:9]
	v_fma_f64 v[106:107], v[96:97], 2.0, -v[100:101]
	v_fma_f64 v[102:103], v[42:43], s[2:3], v[0:1]
	v_fma_f64 v[0:1], v[56:57], s[10:11], v[50:51]
	v_fma_f64 v[4:5], v[10:11], s[10:11], v[4:5]
	v_fma_f64 v[6:7], v[8:9], s[2:3], v[6:7]
	v_fma_f64 v[8:9], v[86:87], 2.0, -v[10:11]
	v_fma_f64 v[10:11], v[12:13], s[2:3], v[92:93]
	v_fma_f64 v[108:109], v[98:99], 2.0, -v[102:103]
	v_fma_f64 v[16:17], v[16:17], 2.0, -v[4:5]
	;; [unrolled: 1-line block ×3, first 2 shown]
	ds_store_b128 v68, v[4:7] offset:5600
	v_fma_f64 v[4:5], v[69:70], 2.0, -v[77:78]
	v_fma_f64 v[6:7], v[71:72], 2.0, -v[79:80]
	;; [unrolled: 1-line block ×4, first 2 shown]
	v_fma_f64 v[14:15], v[8:9], s[2:3], v[94:95]
	v_fma_f64 v[24:25], v[32:33], 2.0, -v[96:97]
	v_fma_f64 v[26:27], v[34:35], 2.0, -v[98:99]
	;; [unrolled: 1-line block ×6, first 2 shown]
	v_fma_f64 v[8:9], v[8:9], s[10:11], v[10:11]
	v_add_f64_e64 v[73:74], v[28:29], -v[4:5]
	v_add_f64_e64 v[75:76], v[30:31], -v[6:7]
	;; [unrolled: 1-line block ×4, first 2 shown]
	v_fma_f64 v[10:11], v[12:13], s[2:3], v[14:15]
	v_fma_f64 v[12:13], v[58:59], s[10:11], v[0:1]
	v_fma_f64 v[0:1], v[58:59], s[10:11], v[48:49]
	ds_store_b128 v68, v[16:19] offset:2400
	v_add_f64_e64 v[6:7], v[75:76], -v[79:80]
	v_add_f64_e32 v[4:5], v[73:74], v[77:78]
	ds_store_b128 v68, v[8:11] offset:4000
	v_fma_f64 v[104:105], v[50:51], 2.0, -v[12:13]
	v_fma_f64 v[14:15], v[56:57], s[2:3], v[0:1]
	v_fma_f64 v[0:1], v[12:13], s[18:19], v[100:101]
	v_fma_f64 v[22:23], v[75:76], 2.0, -v[6:7]
	v_fma_f64 v[20:21], v[73:74], 2.0, -v[4:5]
	ds_store_b128 v68, v[4:7] offset:4800
	v_fma_f64 v[4:5], v[44:45], 2.0, -v[50:51]
	v_fma_f64 v[6:7], v[52:53], 2.0, -v[56:57]
	v_fma_f64 v[2:3], v[14:15], s[18:19], v[102:103]
	v_fma_f64 v[0:1], v[14:15], s[14:15], v[0:1]
	s_delay_alu instid0(VALU_DEP_3) | instskip(SKIP_1) | instid1(VALU_DEP_3)
	v_fma_f64 v[40:41], v[6:7], s[2:3], v[4:5]
	s_wait_alu 0xfffe
	v_fma_f64 v[2:3], v[12:13], s[16:17], v[2:3]
	v_fma_f64 v[12:13], v[48:49], 2.0, -v[14:15]
	v_fma_f64 v[14:15], v[104:105], s[16:17], v[106:107]
	v_fma_f64 v[16:17], v[100:101], 2.0, -v[0:1]
	v_fma_f64 v[40:41], v[38:39], s[10:11], v[40:41]
	v_fma_f64 v[38:39], v[38:39], s[2:3], v[36:37]
	;; [unrolled: 1-line block ×4, first 2 shown]
	v_fma_f64 v[18:19], v[102:103], 2.0, -v[2:3]
	s_delay_alu instid0(VALU_DEP_4)
	v_fma_f64 v[38:39], v[6:7], s[2:3], v[38:39]
	v_fma_f64 v[6:7], v[34:35], s[2:3], v[26:27]
	;; [unrolled: 1-line block ×3, first 2 shown]
	ds_store_b128 v68, v[16:19] offset:2800
	v_fma_f64 v[16:17], v[92:93], 2.0, -v[8:9]
	v_fma_f64 v[18:19], v[94:95], 2.0, -v[10:11]
	;; [unrolled: 1-line block ×4, first 2 shown]
	v_fma_f64 v[42:43], v[32:33], s[2:3], v[6:7]
	ds_store_b128 v68, v[12:15] offset:4400
	v_fma_f64 v[6:7], v[32:33], s[2:3], v[24:25]
	v_fma_f64 v[10:11], v[108:109], 2.0, -v[14:15]
	s_delay_alu instid0(VALU_DEP_2) | instskip(SKIP_2) | instid1(VALU_DEP_3)
	v_fma_f64 v[32:33], v[34:35], s[10:11], v[6:7]
	v_fma_f64 v[34:35], v[4:5], 2.0, -v[40:41]
	v_fma_f64 v[4:5], v[38:39], s[14:15], v[42:43]
	v_fma_f64 v[44:45], v[40:41], s[14:15], v[32:33]
	s_delay_alu instid0(VALU_DEP_2) | instskip(SKIP_1) | instid1(VALU_DEP_3)
	v_fma_f64 v[6:7], v[40:41], s[12:13], v[4:5]
	v_fma_f64 v[40:41], v[26:27], 2.0, -v[42:43]
	v_fma_f64 v[4:5], v[38:39], s[18:19], v[44:45]
	v_fma_f64 v[38:39], v[24:25], 2.0, -v[32:33]
	s_delay_alu instid0(VALU_DEP_4)
	v_fma_f64 v[14:15], v[42:43], 2.0, -v[6:7]
	ds_store_b128 v68, v[4:7] offset:5200
	ds_store_b128 v68, v[20:23] offset:1600
	v_fma_f64 v[12:13], v[32:33], 2.0, -v[4:5]
	v_fma_f64 v[20:21], v[28:29], 2.0, -v[73:74]
	;; [unrolled: 1-line block ×5, first 2 shown]
	v_fma_f64 v[24:25], v[34:35], s[12:13], v[38:39]
	v_fma_f64 v[26:27], v[36:37], s[12:13], v[40:41]
	v_add_nc_u32_e32 v74, 0x960, v82
	v_add_nc_u32_e32 v73, 0xe10, v82
	;; [unrolled: 1-line block ×3, first 2 shown]
	v_add_f64_e64 v[4:5], v[20:21], -v[4:5]
	v_add_f64_e64 v[6:7], v[22:23], -v[6:7]
	v_fma_f64 v[24:25], v[36:37], s[14:15], v[24:25]
	v_fma_f64 v[26:27], v[34:35], s[16:17], v[26:27]
	s_delay_alu instid0(VALU_DEP_4) | instskip(NEXT) | instid1(VALU_DEP_4)
	v_fma_f64 v[20:21], v[20:21], 2.0, -v[4:5]
	v_fma_f64 v[22:23], v[22:23], 2.0, -v[6:7]
	s_delay_alu instid0(VALU_DEP_4) | instskip(NEXT) | instid1(VALU_DEP_4)
	v_fma_f64 v[28:29], v[38:39], 2.0, -v[24:25]
	v_fma_f64 v[30:31], v[40:41], 2.0, -v[26:27]
	ds_store_b128 v68, v[0:3] offset:6000
	ds_store_b128 v68, v[4:7] offset:3200
	;; [unrolled: 1-line block ×6, first 2 shown]
	ds_store_b128 v68, v[20:23]
	ds_store_b128 v68, v[28:31] offset:400
	global_wb scope:SCOPE_SE
	s_wait_dscnt 0x0
	s_barrier_signal -1
	s_barrier_wait -1
	global_inv scope:SCOPE_SE
	ds_load_b128 v[20:23], v82
	ds_load_b128 v[12:15], v82 offset:1200
	ds_load_b128 v[56:59], v82 offset:12800
	;; [unrolled: 1-line block ×14, first 2 shown]
	s_and_saveexec_b32 s1, s0
	s_cbranch_execz .LBB0_27
; %bb.26:
	ds_load_b128 v[0:3], v82 offset:6000
	ds_load_b128 v[60:63], v82 offset:12400
	;; [unrolled: 1-line block ×3, first 2 shown]
.LBB0_27:
	s_wait_alu 0xfffe
	s_or_b32 exec_lo, exec_lo, s1
	s_wait_dscnt 0x4
	v_mul_f64_e32 v[75:76], v[194:195], v[70:71]
	v_mul_f64_e32 v[77:78], v[198:199], v[58:59]
	;; [unrolled: 1-line block ×12, first 2 shown]
	s_wait_dscnt 0x2
	v_mul_f64_e32 v[102:103], v[218:219], v[54:55]
	v_mul_f64_e32 v[104:105], v[222:223], v[26:27]
	;; [unrolled: 1-line block ×4, first 2 shown]
	s_wait_dscnt 0x1
	v_mul_f64_e32 v[110:111], v[226:227], v[34:35]
	s_wait_dscnt 0x0
	v_mul_f64_e32 v[112:113], v[230:231], v[38:39]
	v_mul_f64_e32 v[114:115], v[226:227], v[32:33]
	;; [unrolled: 1-line block ×3, first 2 shown]
	s_mov_b32 s2, 0xe8584caa
	s_mov_b32 s3, 0xbfebb67a
	;; [unrolled: 1-line block ×3, first 2 shown]
	s_wait_alu 0xfffe
	s_mov_b32 s10, s2
	v_fma_f64 v[68:69], v[192:193], v[68:69], v[75:76]
	v_fma_f64 v[56:57], v[196:197], v[56:57], v[77:78]
	v_fma_f64 v[70:71], v[192:193], v[70:71], -v[79:80]
	v_fma_f64 v[58:59], v[196:197], v[58:59], -v[84:85]
	v_fma_f64 v[48:49], v[200:201], v[48:49], v[86:87]
	v_fma_f64 v[40:41], v[204:205], v[40:41], v[88:89]
	v_fma_f64 v[50:51], v[200:201], v[50:51], -v[90:91]
	v_fma_f64 v[42:43], v[204:205], v[42:43], -v[92:93]
	;; [unrolled: 4-line block ×5, first 2 shown]
	v_add_f64_e32 v[98:99], v[20:21], v[68:69]
	v_add_f64_e32 v[75:76], v[68:69], v[56:57]
	v_add_f64_e64 v[68:69], v[68:69], -v[56:57]
	v_add_f64_e32 v[77:78], v[70:71], v[58:59]
	v_add_f64_e64 v[100:101], v[70:71], -v[58:59]
	v_add_f64_e32 v[79:80], v[48:49], v[40:41]
	v_add_f64_e32 v[70:71], v[22:23], v[70:71]
	;; [unrolled: 1-line block ×11, first 2 shown]
	v_add_f64_e64 v[50:51], v[50:51], -v[42:43]
	v_add_f64_e32 v[94:95], v[32:33], v[36:37]
	v_add_f64_e64 v[48:49], v[48:49], -v[40:41]
	v_add_f64_e32 v[96:97], v[34:35], v[38:39]
	v_add_f64_e32 v[114:115], v[4:5], v[32:33]
	;; [unrolled: 1-line block ×5, first 2 shown]
	v_add_f64_e64 v[118:119], v[30:31], -v[46:47]
	v_add_f64_e64 v[120:121], v[28:29], -v[44:45]
	;; [unrolled: 1-line block ×6, first 2 shown]
	v_fma_f64 v[75:76], v[75:76], -0.5, v[20:21]
	v_fma_f64 v[77:78], v[77:78], -0.5, v[22:23]
	;; [unrolled: 1-line block ×6, first 2 shown]
	v_add_f64_e32 v[16:17], v[110:111], v[24:25]
	v_fma_f64 v[90:91], v[90:91], -0.5, v[8:9]
	v_add_f64_e32 v[18:19], v[112:113], v[26:27]
	v_fma_f64 v[92:93], v[92:93], -0.5, v[10:11]
	;; [unrolled: 2-line block ×4, first 2 shown]
	v_add_f64_e32 v[6:7], v[70:71], v[58:59]
	v_add_f64_e32 v[10:11], v[104:105], v[42:43]
	;; [unrolled: 1-line block ×6, first 2 shown]
	v_fma_f64 v[24:25], v[100:101], s[2:3], v[75:76]
	s_wait_alu 0xfffe
	v_fma_f64 v[28:29], v[100:101], s[10:11], v[75:76]
	v_fma_f64 v[26:27], v[68:69], s[10:11], v[77:78]
	;; [unrolled: 1-line block ×19, first 2 shown]
	ds_store_b128 v82, v[4:7]
	ds_store_b128 v83, v[24:27] offset:6400
	ds_store_b128 v83, v[28:31] offset:12800
	;; [unrolled: 1-line block ×14, first 2 shown]
	s_and_saveexec_b32 s1, s0
	s_cbranch_execz .LBB0_29
; %bb.28:
	s_clause 0x1
	scratch_load_b128 v[12:15], off, off offset:356 th:TH_LOAD_LU
	scratch_load_b128 v[16:19], off, off offset:372 th:TH_LOAD_LU
	s_wait_loadcnt 0x1
	v_mul_f64_e32 v[4:5], v[14:15], v[60:61]
	s_wait_loadcnt 0x0
	v_mul_f64_e32 v[6:7], v[18:19], v[64:65]
	v_mul_f64_e32 v[8:9], v[14:15], v[62:63]
	;; [unrolled: 1-line block ×3, first 2 shown]
	s_delay_alu instid0(VALU_DEP_4) | instskip(NEXT) | instid1(VALU_DEP_4)
	v_fma_f64 v[4:5], v[12:13], v[62:63], -v[4:5]
	v_fma_f64 v[6:7], v[16:17], v[66:67], -v[6:7]
	s_delay_alu instid0(VALU_DEP_4) | instskip(NEXT) | instid1(VALU_DEP_4)
	v_fma_f64 v[8:9], v[12:13], v[60:61], v[8:9]
	v_fma_f64 v[10:11], v[16:17], v[64:65], v[10:11]
	s_delay_alu instid0(VALU_DEP_4) | instskip(NEXT) | instid1(VALU_DEP_4)
	v_add_f64_e32 v[18:19], v[2:3], v[4:5]
	v_add_f64_e32 v[12:13], v[4:5], v[6:7]
	v_add_f64_e64 v[4:5], v[4:5], -v[6:7]
	s_delay_alu instid0(VALU_DEP_4)
	v_add_f64_e32 v[14:15], v[8:9], v[10:11]
	v_add_f64_e64 v[16:17], v[8:9], -v[10:11]
	v_add_f64_e32 v[8:9], v[0:1], v[8:9]
	v_fma_f64 v[12:13], v[12:13], -0.5, v[2:3]
	v_add_f64_e32 v[2:3], v[18:19], v[6:7]
	v_fma_f64 v[14:15], v[14:15], -0.5, v[0:1]
	s_delay_alu instid0(VALU_DEP_4) | instskip(NEXT) | instid1(VALU_DEP_4)
	v_add_f64_e32 v[0:1], v[8:9], v[10:11]
	v_fma_f64 v[10:11], v[16:17], s[10:11], v[12:13]
	v_fma_f64 v[6:7], v[16:17], s[2:3], v[12:13]
	s_delay_alu instid0(VALU_DEP_4)
	v_fma_f64 v[8:9], v[4:5], s[2:3], v[14:15]
	v_fma_f64 v[4:5], v[4:5], s[10:11], v[14:15]
	ds_store_b128 v82, v[0:3] offset:6000
	ds_store_b128 v82, v[8:11] offset:12400
	;; [unrolled: 1-line block ×3, first 2 shown]
.LBB0_29:
	s_wait_alu 0xfffe
	s_or_b32 exec_lo, exec_lo, s1
	global_wb scope:SCOPE_SE
	s_wait_dscnt 0x0
	s_barrier_signal -1
	s_barrier_wait -1
	global_inv scope:SCOPE_SE
	ds_load_b128 v[0:3], v82
	ds_load_b128 v[4:7], v82 offset:3840
	ds_load_b128 v[8:11], v82 offset:7680
	;; [unrolled: 1-line block ×7, first 2 shown]
	s_clause 0x3
	scratch_load_b128 v[107:110], off, off offset:40 th:TH_LOAD_LU
	scratch_load_b128 v[125:128], off, off offset:184 th:TH_LOAD_LU
	scratch_load_b64 v[36:37], off, off offset:16 th:TH_LOAD_LU
	scratch_load_b32 v84, off, off th:TH_LOAD_LU
	ds_load_b128 v[32:35], v82 offset:15360
	s_mul_u64 s[0:1], s[4:5], 0xf0
	s_mov_b32 s2, 0xb4e81b4f
	s_wait_alu 0xfffe
	s_lshl_b64 s[10:11], s[0:1], 4
	s_mov_b32 s3, 0x3f4b4e81
	scratch_load_b128 v[131:134], off, off offset:216 th:TH_LOAD_LU ; 16-byte Folded Reload
	s_wait_loadcnt_dscnt 0x408
	v_mul_f64_e32 v[60:61], v[109:110], v[2:3]
	v_mul_f64_e32 v[62:63], v[109:110], v[0:1]
	scratch_load_b128 v[109:112], off, off offset:72 th:TH_LOAD_LU ; 16-byte Folded Reload
	s_wait_loadcnt_dscnt 0x407
	v_mul_f64_e32 v[64:65], v[127:128], v[6:7]
	v_mul_f64_e32 v[66:67], v[127:128], v[4:5]
	s_wait_loadcnt 0x3
	v_mov_b32_e32 v80, v36
	ds_load_b128 v[36:39], v82 offset:5040
	ds_load_b128 v[40:43], v82 offset:12720
	;; [unrolled: 1-line block ×6, first 2 shown]
	s_clause 0x1
	scratch_load_b128 v[127:130], off, off offset:152 th:TH_LOAD_LU
	scratch_load_b128 v[119:122], off, off offset:104 th:TH_LOAD_LU
	v_mad_co_u64_u32 v[76:77], null, s6, v80, 0
	s_wait_loadcnt 0x4
	v_mad_co_u64_u32 v[78:79], null, s4, v84, 0
	s_wait_loadcnt_dscnt 0x30b
	v_mul_f64_e32 v[72:73], v[133:134], v[14:15]
	v_mul_f64_e32 v[74:75], v[133:134], v[12:13]
	s_delay_alu instid0(VALU_DEP_3) | instskip(NEXT) | instid1(VALU_DEP_1)
	v_mad_co_u64_u32 v[80:81], null, s7, v80, v[77:78]
	v_mad_co_u64_u32 v[84:85], null, s5, v84, v[79:80]
	v_mov_b32_e32 v77, v80
	s_delay_alu instid0(VALU_DEP_2)
	v_mov_b32_e32 v79, v84
	v_fma_f64 v[0:1], v[107:108], v[0:1], v[60:61]
	v_fma_f64 v[2:3], v[107:108], v[2:3], -v[62:63]
	v_fma_f64 v[4:5], v[125:126], v[4:5], v[64:65]
	v_fma_f64 v[6:7], v[125:126], v[6:7], -v[66:67]
	v_lshlrev_b64_e32 v[78:79], 4, v[78:79]
	v_fma_f64 v[12:13], v[131:132], v[12:13], v[72:73]
	v_fma_f64 v[14:15], v[131:132], v[14:15], -v[74:75]
	v_lshlrev_b64_e32 v[72:73], 4, v[76:77]
	s_delay_alu instid0(VALU_DEP_1) | instskip(SKIP_1) | instid1(VALU_DEP_2)
	v_add_co_u32 v84, s0, s8, v72
	s_wait_alu 0xf1ff
	v_add_co_ci_u32_e64 v107, s0, s9, v73, s0
	s_delay_alu instid0(VALU_DEP_2) | instskip(SKIP_1) | instid1(VALU_DEP_2)
	v_add_co_u32 v78, s0, v84, v78
	s_wait_alu 0xf1ff
	v_add_co_ci_u32_e64 v79, s0, v107, v79, s0
	s_wait_alu 0xfffe
	v_mul_f64_e32 v[0:1], s[2:3], v[0:1]
	v_mul_f64_e32 v[2:3], s[2:3], v[2:3]
	;; [unrolled: 1-line block ×6, first 2 shown]
	s_wait_loadcnt 0x2
	v_mul_f64_e32 v[68:69], v[111:112], v[10:11]
	v_mul_f64_e32 v[70:71], v[111:112], v[8:9]
	scratch_load_b128 v[111:114], off, off offset:24 th:TH_LOAD_LU ; 16-byte Folded Reload
	s_wait_loadcnt_dscnt 0x205
	v_mul_f64_e32 v[93:94], v[129:130], v[38:39]
	v_mul_f64_e32 v[95:96], v[129:130], v[36:37]
	scratch_load_b128 v[129:132], off, off offset:168 th:TH_LOAD_LU ; 16-byte Folded Reload
	s_wait_loadcnt 0x2
	v_mul_f64_e32 v[85:86], v[121:122], v[34:35]
	v_mul_f64_e32 v[87:88], v[121:122], v[32:33]
	scratch_load_b128 v[121:124], off, off offset:120 th:TH_LOAD_LU ; 16-byte Folded Reload
	v_fma_f64 v[8:9], v[109:110], v[8:9], v[68:69]
	v_fma_f64 v[10:11], v[109:110], v[10:11], -v[70:71]
	v_add_co_u32 v109, s0, v78, s10
	s_wait_alu 0xf1ff
	v_add_co_ci_u32_e64 v110, s0, s11, v79, s0
	v_fma_f64 v[36:37], v[127:128], v[36:37], v[93:94]
	v_fma_f64 v[38:39], v[127:128], v[38:39], -v[95:96]
	v_fma_f64 v[32:33], v[119:120], v[32:33], v[85:86]
	v_fma_f64 v[34:35], v[119:120], v[34:35], -v[87:88]
	v_add_co_u32 v86, s0, v109, s10
	s_wait_alu 0xf1ff
	v_add_co_ci_u32_e64 v87, s0, s11, v110, s0
	v_mul_f64_e32 v[8:9], s[2:3], v[8:9]
	v_mul_f64_e32 v[10:11], s[2:3], v[10:11]
	s_wait_loadcnt 0x2
	v_mul_f64_e32 v[89:90], v[113:114], v[18:19]
	v_mul_f64_e32 v[91:92], v[113:114], v[16:17]
	scratch_load_b128 v[113:116], off, off offset:56 th:TH_LOAD_LU ; 16-byte Folded Reload
	s_wait_loadcnt_dscnt 0x202
	v_mul_f64_e32 v[66:67], v[131:132], v[50:51]
	v_mul_f64_e32 v[68:69], v[131:132], v[48:49]
	scratch_load_b128 v[131:134], off, off offset:200 th:TH_LOAD_LU ; 16-byte Folded Reload
	s_wait_loadcnt 0x2
	v_mul_f64_e32 v[105:106], v[123:124], v[46:47]
	v_mul_f64_e32 v[60:61], v[123:124], v[44:45]
	scratch_load_b128 v[123:126], off, off offset:136 th:TH_LOAD_LU ; 16-byte Folded Reload
	v_fma_f64 v[84:85], v[111:112], v[16:17], v[89:90]
	v_fma_f64 v[88:89], v[111:112], v[18:19], -v[91:92]
	v_mul_f64_e32 v[16:17], s[2:3], v[32:33]
	v_mul_f64_e32 v[18:19], s[2:3], v[34:35]
	v_add_co_u32 v90, s0, v86, s10
	v_fma_f64 v[48:49], v[129:130], v[48:49], v[66:67]
	v_fma_f64 v[50:51], v[129:130], v[50:51], -v[68:69]
	s_wait_alu 0xf1ff
	v_add_co_ci_u32_e64 v91, s0, s11, v87, s0
	v_add_co_u32 v92, s0, v90, s10
	v_fma_f64 v[44:45], v[121:122], v[44:45], v[105:106]
	v_fma_f64 v[46:47], v[121:122], v[46:47], -v[60:61]
	s_wait_alu 0xf1ff
	v_add_co_ci_u32_e64 v93, s0, s11, v91, s0
	s_movk_i32 s0, 0xfc8b
	s_mov_b32 s1, -1
	s_wait_alu 0xfffe
	s_mul_u64 s[0:1], s[4:5], s[0:1]
	s_wait_alu 0xfffe
	s_lshl_b64 s[4:5], s[0:1], 4
	s_wait_loadcnt 0x2
	v_mul_f64_e32 v[97:98], v[115:116], v[22:23]
	v_mul_f64_e32 v[99:100], v[115:116], v[20:21]
	scratch_load_b128 v[115:118], off, off offset:88 th:TH_LOAD_LU ; 16-byte Folded Reload
	s_wait_loadcnt 0x2
	v_mul_f64_e32 v[70:71], v[133:134], v[30:31]
	v_mul_f64_e32 v[74:75], v[133:134], v[28:29]
	scratch_load_b128 v[133:136], off, off offset:232 th:TH_LOAD_LU ; 16-byte Folded Reload
	s_wait_loadcnt 0x2
	v_mul_f64_e32 v[62:63], v[125:126], v[26:27]
	v_mul_f64_e32 v[64:65], v[125:126], v[24:25]
	v_fma_f64 v[20:21], v[113:114], v[20:21], v[97:98]
	v_fma_f64 v[22:23], v[113:114], v[22:23], -v[99:100]
	v_fma_f64 v[60:61], v[131:132], v[28:29], v[70:71]
	v_mul_f64_e32 v[28:29], s[2:3], v[48:49]
	v_fma_f64 v[24:25], v[123:124], v[24:25], v[62:63]
	v_fma_f64 v[26:27], v[123:124], v[26:27], -v[64:65]
	v_fma_f64 v[62:63], v[131:132], v[30:31], -v[74:75]
	s_wait_alu 0xfffe
	v_add_co_u32 v64, s0, v92, s4
	v_mul_f64_e32 v[30:31], s[2:3], v[50:51]
	s_wait_alu 0xf1ff
	v_add_co_ci_u32_e64 v65, s0, s5, v93, s0
	s_delay_alu instid0(VALU_DEP_3) | instskip(SKIP_1) | instid1(VALU_DEP_2)
	v_add_co_u32 v66, s0, v64, s10
	s_wait_alu 0xf1ff
	v_add_co_ci_u32_e64 v67, s0, s11, v65, s0
	s_delay_alu instid0(VALU_DEP_2) | instskip(SKIP_1) | instid1(VALU_DEP_2)
	v_add_co_u32 v68, s0, v66, s10
	s_wait_alu 0xf1ff
	v_add_co_ci_u32_e64 v69, s0, s11, v67, s0
	v_mul_f64_e32 v[32:33], s[2:3], v[60:61]
	v_mul_f64_e32 v[24:25], s[2:3], v[24:25]
	;; [unrolled: 1-line block ×4, first 2 shown]
	s_wait_loadcnt 0x1
	v_mul_f64_e32 v[101:102], v[117:118], v[42:43]
	v_mul_f64_e32 v[103:104], v[117:118], v[40:41]
	s_wait_loadcnt_dscnt 0x1
	v_mul_f64_e32 v[76:77], v[135:136], v[54:55]
	v_mul_f64_e32 v[80:81], v[135:136], v[52:53]
	scratch_load_b128 v[135:138], off, off offset:248 th:TH_LOAD_LU ; 16-byte Folded Reload
	s_clause 0x3
	global_store_b128 v[78:79], v[0:3], off
	global_store_b128 v[109:110], v[4:7], off
	;; [unrolled: 1-line block ×4, first 2 shown]
	v_mul_f64_e32 v[0:1], s[2:3], v[84:85]
	v_mul_f64_e32 v[2:3], s[2:3], v[88:89]
	;; [unrolled: 1-line block ×8, first 2 shown]
	v_add_co_u32 v44, s0, v68, s10
	s_wait_alu 0xf1ff
	v_add_co_ci_u32_e64 v45, s0, s11, v69, s0
	global_store_b128 v[92:93], v[16:19], off
	v_add_co_u32 v16, s0, v44, s10
	s_wait_alu 0xf1ff
	v_add_co_ci_u32_e64 v17, s0, s11, v45, s0
	v_fma_f64 v[40:41], v[115:116], v[40:41], v[101:102]
	v_fma_f64 v[42:43], v[115:116], v[42:43], -v[103:104]
	v_fma_f64 v[52:53], v[133:134], v[52:53], v[76:77]
	v_fma_f64 v[54:55], v[133:134], v[54:55], -v[80:81]
	global_store_b128 v[64:65], v[0:3], off
	v_add_co_u32 v2, s0, v16, s4
	global_store_b128 v[66:67], v[4:7], off
	global_store_b128 v[68:69], v[8:11], off
	s_wait_alu 0xf1ff
	v_add_co_ci_u32_e64 v3, s0, s5, v17, s0
	v_add_co_u32 v4, s0, v2, s10
	s_wait_alu 0xf1ff
	s_delay_alu instid0(VALU_DEP_2) | instskip(NEXT) | instid1(VALU_DEP_2)
	v_add_co_ci_u32_e64 v5, s0, s11, v3, s0
	v_add_co_u32 v6, s0, v4, s10
	s_wait_alu 0xf1ff
	s_delay_alu instid0(VALU_DEP_2) | instskip(NEXT) | instid1(VALU_DEP_2)
	;; [unrolled: 4-line block ×3, first 2 shown]
	v_add_co_ci_u32_e64 v9, s0, s11, v7, s0
	v_add_co_u32 v0, s0, v8, s10
	s_wait_alu 0xf1ff
	s_delay_alu instid0(VALU_DEP_2)
	v_add_co_ci_u32_e64 v1, s0, s11, v9, s0
	v_mul_f64_e32 v[12:13], s[2:3], v[40:41]
	v_mul_f64_e32 v[14:15], s[2:3], v[42:43]
	;; [unrolled: 1-line block ×4, first 2 shown]
	global_store_b128 v[44:45], v[12:15], off
	global_store_b128 v[16:17], v[20:23], off
	s_wait_loadcnt_dscnt 0x0
	v_mul_f64_e32 v[72:73], v[137:138], v[58:59]
	v_mul_f64_e32 v[107:108], v[137:138], v[56:57]
	s_delay_alu instid0(VALU_DEP_2) | instskip(NEXT) | instid1(VALU_DEP_2)
	v_fma_f64 v[56:57], v[135:136], v[56:57], v[72:73]
	v_fma_f64 v[58:59], v[135:136], v[58:59], -v[107:108]
	s_delay_alu instid0(VALU_DEP_2) | instskip(NEXT) | instid1(VALU_DEP_2)
	v_mul_f64_e32 v[40:41], s[2:3], v[56:57]
	v_mul_f64_e32 v[42:43], s[2:3], v[58:59]
	global_store_b128 v[2:3], v[24:27], off
	global_store_b128 v[4:5], v[28:31], off
	;; [unrolled: 1-line block ×5, first 2 shown]
	s_and_b32 exec_lo, exec_lo, vcc_lo
	s_cbranch_execz .LBB0_31
; %bb.30:
	scratch_load_b64 v[16:17], off, off offset:4 th:TH_LOAD_LU ; 8-byte Folded Reload
	ds_load_b128 v[6:9], v83 offset:3600
	v_add_co_u32 v12, vcc_lo, v0, s4
	s_wait_alu 0xfffd
	v_add_co_ci_u32_e32 v13, vcc_lo, s5, v1, vcc_lo
	s_wait_loadcnt 0x0
	global_load_b128 v[2:5], v[16:17], off offset:3600
	s_wait_loadcnt_dscnt 0x0
	v_mul_f64_e32 v[10:11], v[8:9], v[4:5]
	v_mul_f64_e32 v[4:5], v[6:7], v[4:5]
	s_delay_alu instid0(VALU_DEP_2) | instskip(NEXT) | instid1(VALU_DEP_2)
	v_fma_f64 v[6:7], v[6:7], v[2:3], v[10:11]
	v_fma_f64 v[4:5], v[2:3], v[8:9], -v[4:5]
	s_delay_alu instid0(VALU_DEP_2) | instskip(NEXT) | instid1(VALU_DEP_2)
	v_mul_f64_e32 v[2:3], s[2:3], v[6:7]
	v_mul_f64_e32 v[4:5], s[2:3], v[4:5]
	global_store_b128 v[12:13], v[2:5], off
	global_load_b128 v[0:3], v[16:17], off offset:7440
	ds_load_b128 v[4:7], v82 offset:7440
	ds_load_b128 v[8:11], v82 offset:11280
	s_wait_loadcnt_dscnt 0x1
	v_mul_f64_e32 v[14:15], v[6:7], v[2:3]
	v_mul_f64_e32 v[2:3], v[4:5], v[2:3]
	s_delay_alu instid0(VALU_DEP_2) | instskip(NEXT) | instid1(VALU_DEP_2)
	v_fma_f64 v[4:5], v[4:5], v[0:1], v[14:15]
	v_fma_f64 v[2:3], v[0:1], v[6:7], -v[2:3]
	s_delay_alu instid0(VALU_DEP_2) | instskip(NEXT) | instid1(VALU_DEP_2)
	v_mul_f64_e32 v[0:1], s[2:3], v[4:5]
	v_mul_f64_e32 v[2:3], s[2:3], v[2:3]
	v_add_co_u32 v4, vcc_lo, v12, s10
	s_wait_alu 0xfffd
	v_add_co_ci_u32_e32 v5, vcc_lo, s11, v13, vcc_lo
	s_delay_alu instid0(VALU_DEP_2) | instskip(SKIP_1) | instid1(VALU_DEP_2)
	v_add_co_u32 v12, vcc_lo, v4, s10
	s_wait_alu 0xfffd
	v_add_co_ci_u32_e32 v13, vcc_lo, s11, v5, vcc_lo
	global_store_b128 v[4:5], v[0:3], off
	global_load_b128 v[0:3], v[16:17], off offset:11280
	s_wait_loadcnt_dscnt 0x0
	v_mul_f64_e32 v[6:7], v[10:11], v[2:3]
	v_mul_f64_e32 v[2:3], v[8:9], v[2:3]
	s_delay_alu instid0(VALU_DEP_2) | instskip(NEXT) | instid1(VALU_DEP_2)
	v_fma_f64 v[6:7], v[8:9], v[0:1], v[6:7]
	v_fma_f64 v[2:3], v[0:1], v[10:11], -v[2:3]
	s_delay_alu instid0(VALU_DEP_2) | instskip(NEXT) | instid1(VALU_DEP_2)
	v_mul_f64_e32 v[0:1], s[2:3], v[6:7]
	v_mul_f64_e32 v[2:3], s[2:3], v[2:3]
	global_store_b128 v[12:13], v[0:3], off
	global_load_b128 v[0:3], v[16:17], off offset:15120
	ds_load_b128 v[4:7], v82 offset:15120
	ds_load_b128 v[8:11], v82 offset:18960
	s_wait_loadcnt_dscnt 0x1
	v_mul_f64_e32 v[14:15], v[6:7], v[2:3]
	v_mul_f64_e32 v[2:3], v[4:5], v[2:3]
	s_delay_alu instid0(VALU_DEP_2) | instskip(NEXT) | instid1(VALU_DEP_2)
	v_fma_f64 v[4:5], v[4:5], v[0:1], v[14:15]
	v_fma_f64 v[2:3], v[0:1], v[6:7], -v[2:3]
	s_delay_alu instid0(VALU_DEP_2) | instskip(NEXT) | instid1(VALU_DEP_2)
	v_mul_f64_e32 v[0:1], s[2:3], v[4:5]
	v_mul_f64_e32 v[2:3], s[2:3], v[2:3]
	v_add_co_u32 v4, vcc_lo, v12, s10
	s_wait_alu 0xfffd
	v_add_co_ci_u32_e32 v5, vcc_lo, s11, v13, vcc_lo
	global_store_b128 v[4:5], v[0:3], off
	global_load_b128 v[0:3], v[16:17], off offset:18960
	v_add_co_u32 v4, vcc_lo, v4, s10
	s_wait_alu 0xfffd
	v_add_co_ci_u32_e32 v5, vcc_lo, s11, v5, vcc_lo
	s_wait_loadcnt_dscnt 0x0
	v_mul_f64_e32 v[6:7], v[10:11], v[2:3]
	v_mul_f64_e32 v[2:3], v[8:9], v[2:3]
	s_delay_alu instid0(VALU_DEP_2) | instskip(NEXT) | instid1(VALU_DEP_2)
	v_fma_f64 v[6:7], v[8:9], v[0:1], v[6:7]
	v_fma_f64 v[2:3], v[0:1], v[10:11], -v[2:3]
	s_delay_alu instid0(VALU_DEP_2) | instskip(NEXT) | instid1(VALU_DEP_2)
	v_mul_f64_e32 v[0:1], s[2:3], v[6:7]
	v_mul_f64_e32 v[2:3], s[2:3], v[2:3]
	global_store_b128 v[4:5], v[0:3], off
.LBB0_31:
	s_nop 0
	s_sendmsg sendmsg(MSG_DEALLOC_VGPRS)
	s_endpgm
	.section	.rodata,"a",@progbits
	.p2align	6, 0x0
	.amdhsa_kernel bluestein_single_fwd_len1200_dim1_dp_op_CI_CI
		.amdhsa_group_segment_fixed_size 57600
		.amdhsa_private_segment_fixed_size 392
		.amdhsa_kernarg_size 104
		.amdhsa_user_sgpr_count 2
		.amdhsa_user_sgpr_dispatch_ptr 0
		.amdhsa_user_sgpr_queue_ptr 0
		.amdhsa_user_sgpr_kernarg_segment_ptr 1
		.amdhsa_user_sgpr_dispatch_id 0
		.amdhsa_user_sgpr_private_segment_size 0
		.amdhsa_wavefront_size32 1
		.amdhsa_uses_dynamic_stack 0
		.amdhsa_enable_private_segment 1
		.amdhsa_system_sgpr_workgroup_id_x 1
		.amdhsa_system_sgpr_workgroup_id_y 0
		.amdhsa_system_sgpr_workgroup_id_z 0
		.amdhsa_system_sgpr_workgroup_info 0
		.amdhsa_system_vgpr_workitem_id 0
		.amdhsa_next_free_vgpr 256
		.amdhsa_next_free_sgpr 22
		.amdhsa_reserve_vcc 1
		.amdhsa_float_round_mode_32 0
		.amdhsa_float_round_mode_16_64 0
		.amdhsa_float_denorm_mode_32 3
		.amdhsa_float_denorm_mode_16_64 3
		.amdhsa_fp16_overflow 0
		.amdhsa_workgroup_processor_mode 1
		.amdhsa_memory_ordered 1
		.amdhsa_forward_progress 0
		.amdhsa_round_robin_scheduling 0
		.amdhsa_exception_fp_ieee_invalid_op 0
		.amdhsa_exception_fp_denorm_src 0
		.amdhsa_exception_fp_ieee_div_zero 0
		.amdhsa_exception_fp_ieee_overflow 0
		.amdhsa_exception_fp_ieee_underflow 0
		.amdhsa_exception_fp_ieee_inexact 0
		.amdhsa_exception_int_div_zero 0
	.end_amdhsa_kernel
	.text
.Lfunc_end0:
	.size	bluestein_single_fwd_len1200_dim1_dp_op_CI_CI, .Lfunc_end0-bluestein_single_fwd_len1200_dim1_dp_op_CI_CI
                                        ; -- End function
	.section	.AMDGPU.csdata,"",@progbits
; Kernel info:
; codeLenInByte = 24072
; NumSgprs: 24
; NumVgprs: 256
; ScratchSize: 392
; MemoryBound: 0
; FloatMode: 240
; IeeeMode: 1
; LDSByteSize: 57600 bytes/workgroup (compile time only)
; SGPRBlocks: 2
; VGPRBlocks: 31
; NumSGPRsForWavesPerEU: 24
; NumVGPRsForWavesPerEU: 256
; Occupancy: 4
; WaveLimiterHint : 1
; COMPUTE_PGM_RSRC2:SCRATCH_EN: 1
; COMPUTE_PGM_RSRC2:USER_SGPR: 2
; COMPUTE_PGM_RSRC2:TRAP_HANDLER: 0
; COMPUTE_PGM_RSRC2:TGID_X_EN: 1
; COMPUTE_PGM_RSRC2:TGID_Y_EN: 0
; COMPUTE_PGM_RSRC2:TGID_Z_EN: 0
; COMPUTE_PGM_RSRC2:TIDIG_COMP_CNT: 0
	.text
	.p2alignl 7, 3214868480
	.fill 96, 4, 3214868480
	.type	__hip_cuid_6e34f1050d70c00,@object ; @__hip_cuid_6e34f1050d70c00
	.section	.bss,"aw",@nobits
	.globl	__hip_cuid_6e34f1050d70c00
__hip_cuid_6e34f1050d70c00:
	.byte	0                               ; 0x0
	.size	__hip_cuid_6e34f1050d70c00, 1

	.ident	"AMD clang version 19.0.0git (https://github.com/RadeonOpenCompute/llvm-project roc-6.4.0 25133 c7fe45cf4b819c5991fe208aaa96edf142730f1d)"
	.section	".note.GNU-stack","",@progbits
	.addrsig
	.addrsig_sym __hip_cuid_6e34f1050d70c00
	.amdgpu_metadata
---
amdhsa.kernels:
  - .args:
      - .actual_access:  read_only
        .address_space:  global
        .offset:         0
        .size:           8
        .value_kind:     global_buffer
      - .actual_access:  read_only
        .address_space:  global
        .offset:         8
        .size:           8
        .value_kind:     global_buffer
      - .actual_access:  read_only
        .address_space:  global
        .offset:         16
        .size:           8
        .value_kind:     global_buffer
      - .actual_access:  read_only
        .address_space:  global
        .offset:         24
        .size:           8
        .value_kind:     global_buffer
      - .actual_access:  read_only
        .address_space:  global
        .offset:         32
        .size:           8
        .value_kind:     global_buffer
      - .offset:         40
        .size:           8
        .value_kind:     by_value
      - .address_space:  global
        .offset:         48
        .size:           8
        .value_kind:     global_buffer
      - .address_space:  global
        .offset:         56
        .size:           8
        .value_kind:     global_buffer
      - .address_space:  global
        .offset:         64
        .size:           8
        .value_kind:     global_buffer
      - .address_space:  global
        .offset:         72
        .size:           8
        .value_kind:     global_buffer
      - .offset:         80
        .size:           4
        .value_kind:     by_value
      - .address_space:  global
        .offset:         88
        .size:           8
        .value_kind:     global_buffer
      - .address_space:  global
        .offset:         96
        .size:           8
        .value_kind:     global_buffer
    .group_segment_fixed_size: 57600
    .kernarg_segment_align: 8
    .kernarg_segment_size: 104
    .language:       OpenCL C
    .language_version:
      - 2
      - 0
    .max_flat_workgroup_size: 225
    .name:           bluestein_single_fwd_len1200_dim1_dp_op_CI_CI
    .private_segment_fixed_size: 392
    .sgpr_count:     24
    .sgpr_spill_count: 0
    .symbol:         bluestein_single_fwd_len1200_dim1_dp_op_CI_CI.kd
    .uniform_work_group_size: 1
    .uses_dynamic_stack: false
    .vgpr_count:     256
    .vgpr_spill_count: 97
    .wavefront_size: 32
    .workgroup_processor_mode: 1
amdhsa.target:   amdgcn-amd-amdhsa--gfx1201
amdhsa.version:
  - 1
  - 2
...

	.end_amdgpu_metadata
